;; amdgpu-corpus repo=ROCm/rocFFT kind=compiled arch=gfx1030 opt=O3
	.text
	.amdgcn_target "amdgcn-amd-amdhsa--gfx1030"
	.amdhsa_code_object_version 6
	.protected	fft_rtc_back_len4000_factors_10_10_10_4_wgs_200_tpt_200_halfLds_dp_ip_CI_sbrr_dirReg ; -- Begin function fft_rtc_back_len4000_factors_10_10_10_4_wgs_200_tpt_200_halfLds_dp_ip_CI_sbrr_dirReg
	.globl	fft_rtc_back_len4000_factors_10_10_10_4_wgs_200_tpt_200_halfLds_dp_ip_CI_sbrr_dirReg
	.p2align	8
	.type	fft_rtc_back_len4000_factors_10_10_10_4_wgs_200_tpt_200_halfLds_dp_ip_CI_sbrr_dirReg,@function
fft_rtc_back_len4000_factors_10_10_10_4_wgs_200_tpt_200_halfLds_dp_ip_CI_sbrr_dirReg: ; @fft_rtc_back_len4000_factors_10_10_10_4_wgs_200_tpt_200_halfLds_dp_ip_CI_sbrr_dirReg
; %bb.0:
	s_clause 0x2
	s_load_dwordx2 s[14:15], s[4:5], 0x18
	s_load_dwordx4 s[8:11], s[4:5], 0x0
	s_load_dwordx2 s[12:13], s[4:5], 0x50
	v_mul_u32_u24_e32 v1, 0x148, v0
	v_mov_b32_e32 v3, 0
	v_add_nc_u32_sdwa v5, s6, v1 dst_sel:DWORD dst_unused:UNUSED_PAD src0_sel:DWORD src1_sel:WORD_1
	v_mov_b32_e32 v1, 0
	v_mov_b32_e32 v6, v3
	v_mov_b32_e32 v2, 0
	s_waitcnt lgkmcnt(0)
	s_load_dwordx2 s[2:3], s[14:15], 0x0
	v_cmp_lt_u64_e64 s0, s[10:11], 2
	s_and_b32 vcc_lo, exec_lo, s0
	s_cbranch_vccnz .LBB0_8
; %bb.1:
	s_load_dwordx2 s[0:1], s[4:5], 0x10
	v_mov_b32_e32 v1, 0
	s_add_u32 s6, s14, 8
	v_mov_b32_e32 v2, 0
	s_addc_u32 s7, s15, 0
	s_mov_b64 s[18:19], 1
	s_waitcnt lgkmcnt(0)
	s_add_u32 s16, s0, 8
	s_addc_u32 s17, s1, 0
.LBB0_2:                                ; =>This Inner Loop Header: Depth=1
	s_load_dwordx2 s[20:21], s[16:17], 0x0
                                        ; implicit-def: $vgpr7_vgpr8
	s_mov_b32 s0, exec_lo
	s_waitcnt lgkmcnt(0)
	v_or_b32_e32 v4, s21, v6
	v_cmpx_ne_u64_e32 0, v[3:4]
	s_xor_b32 s1, exec_lo, s0
	s_cbranch_execz .LBB0_4
; %bb.3:                                ;   in Loop: Header=BB0_2 Depth=1
	v_cvt_f32_u32_e32 v4, s20
	v_cvt_f32_u32_e32 v7, s21
	s_sub_u32 s0, 0, s20
	s_subb_u32 s22, 0, s21
	v_fmac_f32_e32 v4, 0x4f800000, v7
	v_rcp_f32_e32 v4, v4
	v_mul_f32_e32 v4, 0x5f7ffffc, v4
	v_mul_f32_e32 v7, 0x2f800000, v4
	v_trunc_f32_e32 v7, v7
	v_fmac_f32_e32 v4, 0xcf800000, v7
	v_cvt_u32_f32_e32 v7, v7
	v_cvt_u32_f32_e32 v4, v4
	v_mul_lo_u32 v8, s0, v7
	v_mul_hi_u32 v9, s0, v4
	v_mul_lo_u32 v10, s22, v4
	v_add_nc_u32_e32 v8, v9, v8
	v_mul_lo_u32 v9, s0, v4
	v_add_nc_u32_e32 v8, v8, v10
	v_mul_hi_u32 v10, v4, v9
	v_mul_lo_u32 v11, v4, v8
	v_mul_hi_u32 v12, v4, v8
	v_mul_hi_u32 v13, v7, v9
	v_mul_lo_u32 v9, v7, v9
	v_mul_hi_u32 v14, v7, v8
	v_mul_lo_u32 v8, v7, v8
	v_add_co_u32 v10, vcc_lo, v10, v11
	v_add_co_ci_u32_e32 v11, vcc_lo, 0, v12, vcc_lo
	v_add_co_u32 v9, vcc_lo, v10, v9
	v_add_co_ci_u32_e32 v9, vcc_lo, v11, v13, vcc_lo
	v_add_co_ci_u32_e32 v10, vcc_lo, 0, v14, vcc_lo
	v_add_co_u32 v8, vcc_lo, v9, v8
	v_add_co_ci_u32_e32 v9, vcc_lo, 0, v10, vcc_lo
	v_add_co_u32 v4, vcc_lo, v4, v8
	v_add_co_ci_u32_e32 v7, vcc_lo, v7, v9, vcc_lo
	v_mul_hi_u32 v8, s0, v4
	v_mul_lo_u32 v10, s22, v4
	v_mul_lo_u32 v9, s0, v7
	v_add_nc_u32_e32 v8, v8, v9
	v_mul_lo_u32 v9, s0, v4
	v_add_nc_u32_e32 v8, v8, v10
	v_mul_hi_u32 v10, v4, v9
	v_mul_lo_u32 v11, v4, v8
	v_mul_hi_u32 v12, v4, v8
	v_mul_hi_u32 v13, v7, v9
	v_mul_lo_u32 v9, v7, v9
	v_mul_hi_u32 v14, v7, v8
	v_mul_lo_u32 v8, v7, v8
	v_add_co_u32 v10, vcc_lo, v10, v11
	v_add_co_ci_u32_e32 v11, vcc_lo, 0, v12, vcc_lo
	v_add_co_u32 v9, vcc_lo, v10, v9
	v_add_co_ci_u32_e32 v9, vcc_lo, v11, v13, vcc_lo
	v_add_co_ci_u32_e32 v10, vcc_lo, 0, v14, vcc_lo
	v_add_co_u32 v8, vcc_lo, v9, v8
	v_add_co_ci_u32_e32 v9, vcc_lo, 0, v10, vcc_lo
	v_add_co_u32 v4, vcc_lo, v4, v8
	v_add_co_ci_u32_e32 v11, vcc_lo, v7, v9, vcc_lo
	v_mul_hi_u32 v13, v5, v4
	v_mad_u64_u32 v[9:10], null, v6, v4, 0
	v_mad_u64_u32 v[7:8], null, v5, v11, 0
	;; [unrolled: 1-line block ×3, first 2 shown]
	v_add_co_u32 v4, vcc_lo, v13, v7
	v_add_co_ci_u32_e32 v7, vcc_lo, 0, v8, vcc_lo
	v_add_co_u32 v4, vcc_lo, v4, v9
	v_add_co_ci_u32_e32 v4, vcc_lo, v7, v10, vcc_lo
	v_add_co_ci_u32_e32 v7, vcc_lo, 0, v12, vcc_lo
	v_add_co_u32 v4, vcc_lo, v4, v11
	v_add_co_ci_u32_e32 v9, vcc_lo, 0, v7, vcc_lo
	v_mul_lo_u32 v10, s21, v4
	v_mad_u64_u32 v[7:8], null, s20, v4, 0
	v_mul_lo_u32 v11, s20, v9
	v_sub_co_u32 v7, vcc_lo, v5, v7
	v_add3_u32 v8, v8, v11, v10
	v_sub_nc_u32_e32 v10, v6, v8
	v_subrev_co_ci_u32_e64 v10, s0, s21, v10, vcc_lo
	v_add_co_u32 v11, s0, v4, 2
	v_add_co_ci_u32_e64 v12, s0, 0, v9, s0
	v_sub_co_u32 v13, s0, v7, s20
	v_sub_co_ci_u32_e32 v8, vcc_lo, v6, v8, vcc_lo
	v_subrev_co_ci_u32_e64 v10, s0, 0, v10, s0
	v_cmp_le_u32_e32 vcc_lo, s20, v13
	v_cmp_eq_u32_e64 s0, s21, v8
	v_cndmask_b32_e64 v13, 0, -1, vcc_lo
	v_cmp_le_u32_e32 vcc_lo, s21, v10
	v_cndmask_b32_e64 v14, 0, -1, vcc_lo
	v_cmp_le_u32_e32 vcc_lo, s20, v7
	;; [unrolled: 2-line block ×3, first 2 shown]
	v_cndmask_b32_e64 v15, 0, -1, vcc_lo
	v_cmp_eq_u32_e32 vcc_lo, s21, v10
	v_cndmask_b32_e64 v7, v15, v7, s0
	v_cndmask_b32_e32 v10, v14, v13, vcc_lo
	v_add_co_u32 v13, vcc_lo, v4, 1
	v_add_co_ci_u32_e32 v14, vcc_lo, 0, v9, vcc_lo
	v_cmp_ne_u32_e32 vcc_lo, 0, v10
	v_cndmask_b32_e32 v8, v14, v12, vcc_lo
	v_cndmask_b32_e32 v10, v13, v11, vcc_lo
	v_cmp_ne_u32_e32 vcc_lo, 0, v7
	v_cndmask_b32_e32 v8, v9, v8, vcc_lo
	v_cndmask_b32_e32 v7, v4, v10, vcc_lo
.LBB0_4:                                ;   in Loop: Header=BB0_2 Depth=1
	s_andn2_saveexec_b32 s0, s1
	s_cbranch_execz .LBB0_6
; %bb.5:                                ;   in Loop: Header=BB0_2 Depth=1
	v_cvt_f32_u32_e32 v4, s20
	s_sub_i32 s1, 0, s20
	v_rcp_iflag_f32_e32 v4, v4
	v_mul_f32_e32 v4, 0x4f7ffffe, v4
	v_cvt_u32_f32_e32 v4, v4
	v_mul_lo_u32 v7, s1, v4
	v_mul_hi_u32 v7, v4, v7
	v_add_nc_u32_e32 v4, v4, v7
	v_mul_hi_u32 v4, v5, v4
	v_mul_lo_u32 v7, v4, s20
	v_add_nc_u32_e32 v8, 1, v4
	v_sub_nc_u32_e32 v7, v5, v7
	v_subrev_nc_u32_e32 v9, s20, v7
	v_cmp_le_u32_e32 vcc_lo, s20, v7
	v_cndmask_b32_e32 v7, v7, v9, vcc_lo
	v_cndmask_b32_e32 v4, v4, v8, vcc_lo
	v_cmp_le_u32_e32 vcc_lo, s20, v7
	v_add_nc_u32_e32 v8, 1, v4
	v_cndmask_b32_e32 v7, v4, v8, vcc_lo
	v_mov_b32_e32 v8, v3
.LBB0_6:                                ;   in Loop: Header=BB0_2 Depth=1
	s_or_b32 exec_lo, exec_lo, s0
	s_load_dwordx2 s[0:1], s[6:7], 0x0
	v_mul_lo_u32 v4, v8, s20
	v_mul_lo_u32 v11, v7, s21
	v_mad_u64_u32 v[9:10], null, v7, s20, 0
	s_add_u32 s18, s18, 1
	s_addc_u32 s19, s19, 0
	s_add_u32 s6, s6, 8
	s_addc_u32 s7, s7, 0
	;; [unrolled: 2-line block ×3, first 2 shown]
	v_add3_u32 v4, v10, v11, v4
	v_sub_co_u32 v5, vcc_lo, v5, v9
	v_sub_co_ci_u32_e32 v4, vcc_lo, v6, v4, vcc_lo
	s_waitcnt lgkmcnt(0)
	v_mul_lo_u32 v6, s1, v5
	v_mul_lo_u32 v4, s0, v4
	v_mad_u64_u32 v[1:2], null, s0, v5, v[1:2]
	v_cmp_ge_u64_e64 s0, s[18:19], s[10:11]
	s_and_b32 vcc_lo, exec_lo, s0
	v_add3_u32 v2, v6, v2, v4
	s_cbranch_vccnz .LBB0_9
; %bb.7:                                ;   in Loop: Header=BB0_2 Depth=1
	v_mov_b32_e32 v5, v7
	v_mov_b32_e32 v6, v8
	s_branch .LBB0_2
.LBB0_8:
	v_mov_b32_e32 v8, v6
	v_mov_b32_e32 v7, v5
.LBB0_9:
	s_lshl_b64 s[0:1], s[10:11], 3
	v_mul_hi_u32 v3, 0x147ae15, v0
	s_add_u32 s0, s14, s0
	s_addc_u32 s1, s15, s1
	s_load_dwordx2 s[4:5], s[4:5], 0x20
	s_load_dwordx2 s[0:1], s[0:1], 0x0
                                        ; implicit-def: $vgpr131
                                        ; implicit-def: $vgpr132
                                        ; implicit-def: $vgpr134
                                        ; implicit-def: $vgpr133
	v_mul_u32_u24_e32 v3, 0xc8, v3
	v_sub_nc_u32_e32 v122, v0, v3
	v_add_nc_u32_e32 v123, 0xc8, v122
	v_add_nc_u32_e32 v121, 0x190, v122
	;; [unrolled: 1-line block ×4, first 2 shown]
	s_waitcnt lgkmcnt(0)
	v_cmp_gt_u64_e32 vcc_lo, s[4:5], v[7:8]
	v_mul_lo_u32 v3, s0, v8
	v_mul_lo_u32 v4, s1, v7
	v_mad_u64_u32 v[0:1], null, s0, v7, v[1:2]
	v_cmp_le_u64_e64 s0, s[4:5], v[7:8]
	v_add3_u32 v1, v4, v1, v3
	s_and_saveexec_b32 s1, s0
	s_xor_b32 s0, exec_lo, s1
; %bb.10:
	v_add_nc_u32_e32 v131, 0xc8, v122
	v_add_nc_u32_e32 v132, 0x190, v122
	;; [unrolled: 1-line block ×4, first 2 shown]
; %bb.11:
	s_or_saveexec_b32 s1, s0
	v_lshlrev_b64 v[104:105], 4, v[0:1]
	v_add_nc_u32_e32 v126, 0x4b0, v122
	v_add_nc_u32_e32 v128, 0x7d0, v122
	;; [unrolled: 1-line block ×6, first 2 shown]
                                        ; implicit-def: $vgpr54_vgpr55
                                        ; implicit-def: $vgpr74_vgpr75
                                        ; implicit-def: $vgpr50_vgpr51
                                        ; implicit-def: $vgpr70_vgpr71
                                        ; implicit-def: $vgpr42_vgpr43
                                        ; implicit-def: $vgpr18_vgpr19
                                        ; implicit-def: $vgpr34_vgpr35
                                        ; implicit-def: $vgpr22_vgpr23
                                        ; implicit-def: $vgpr10_vgpr11
                                        ; implicit-def: $vgpr6_vgpr7
                                        ; implicit-def: $vgpr2_vgpr3
                                        ; implicit-def: $vgpr14_vgpr15
                                        ; implicit-def: $vgpr30_vgpr31
                                        ; implicit-def: $vgpr26_vgpr27
                                        ; implicit-def: $vgpr38_vgpr39
                                        ; implicit-def: $vgpr62_vgpr63
                                        ; implicit-def: $vgpr46_vgpr47
                                        ; implicit-def: $vgpr78_vgpr79
                                        ; implicit-def: $vgpr66_vgpr67
                                        ; implicit-def: $vgpr58_vgpr59
	s_xor_b32 exec_lo, exec_lo, s1
	s_cbranch_execz .LBB0_13
; %bb.12:
	v_mad_u64_u32 v[0:1], null, s2, v122, 0
	v_mad_u64_u32 v[2:3], null, s2, v121, 0
	;; [unrolled: 1-line block ×4, first 2 shown]
	v_add_nc_u32_e32 v14, 0x640, v122
	v_add_nc_u32_e32 v18, 0x960, v122
	v_mad_u64_u32 v[8:9], null, s3, v122, v[1:2]
	v_mad_u64_u32 v[9:10], null, s3, v121, v[3:4]
	;; [unrolled: 1-line block ×3, first 2 shown]
	v_add_co_u32 v45, s0, s12, v104
	v_mov_b32_e32 v1, v8
	v_add_co_ci_u32_e64 v46, s0, s13, v105, s0
	v_mov_b32_e32 v3, v9
	v_mad_u64_u32 v[8:9], null, s3, v120, v[5:6]
	v_lshlrev_b64 v[0:1], 4, v[0:1]
	v_add_nc_u32_e32 v21, 0xaf0, v122
	v_lshlrev_b64 v[2:3], 4, v[2:3]
	v_add_nc_u32_e32 v26, 0xe10, v122
	v_mad_u64_u32 v[28:29], null, s2, v129, 0
	v_mad_u64_u32 v[12:13], null, s3, v126, v[7:8]
	v_mov_b32_e32 v5, v8
	v_mov_b32_e32 v8, v11
	v_add_co_u32 v0, s0, v45, v0
	v_add_co_ci_u32_e64 v1, s0, v46, v1, s0
	v_mov_b32_e32 v7, v12
	v_mad_u64_u32 v[12:13], null, s2, v128, 0
	v_mad_u64_u32 v[8:9], null, s3, v14, v[8:9]
	;; [unrolled: 1-line block ×3, first 2 shown]
	v_lshlrev_b64 v[4:5], 4, v[4:5]
	v_add_co_u32 v2, s0, v45, v2
	v_mov_b32_e32 v9, v13
	v_mov_b32_e32 v11, v8
	v_lshlrev_b64 v[6:7], 4, v[6:7]
	v_add_co_ci_u32_e64 v3, s0, v46, v3, s0
	v_mad_u64_u32 v[8:9], null, s3, v128, v[9:10]
	v_lshlrev_b64 v[9:10], 4, v[10:11]
	v_mov_b32_e32 v11, v15
	v_add_co_u32 v4, s0, v45, v4
	v_mad_u64_u32 v[16:17], null, s2, v21, 0
	v_add_co_ci_u32_e64 v5, s0, v46, v5, s0
	v_mov_b32_e32 v13, v8
	v_add_co_u32 v6, s0, v45, v6
	v_mad_u64_u32 v[18:19], null, s3, v18, v[11:12]
	v_add_co_ci_u32_e64 v7, s0, v46, v7, s0
	v_mad_u64_u32 v[19:20], null, s2, v125, 0
	v_add_co_u32 v8, s0, v45, v9
	v_lshlrev_b64 v[11:12], 4, v[12:13]
	v_add_co_ci_u32_e64 v9, s0, v46, v10, s0
	v_mov_b32_e32 v10, v17
	v_mov_b32_e32 v15, v18
	v_add_nc_u32_e32 v34, 0x578, v122
	v_add_nc_u32_e32 v36, 0x708, v122
	;; [unrolled: 1-line block ×3, first 2 shown]
	v_mad_u64_u32 v[17:18], null, s3, v21, v[10:11]
	v_mov_b32_e32 v10, v20
	v_add_co_u32 v11, s0, v45, v11
	v_mad_u64_u32 v[21:22], null, s2, v26, 0
	v_lshlrev_b64 v[13:14], 4, v[14:15]
	v_mad_u64_u32 v[23:24], null, s3, v125, v[10:11]
	v_mad_u64_u32 v[24:25], null, s2, v123, 0
	v_lshlrev_b64 v[15:16], 4, v[16:17]
	v_mov_b32_e32 v10, v22
	v_add_co_ci_u32_e64 v12, s0, v46, v12, s0
	v_mov_b32_e32 v20, v23
	v_add_co_u32 v13, s0, v45, v13
	v_mad_u64_u32 v[17:18], null, s3, v26, v[10:11]
	v_mov_b32_e32 v10, v25
	v_lshlrev_b64 v[18:19], 4, v[19:20]
	v_add_co_ci_u32_e64 v14, s0, v46, v14, s0
	v_add_co_u32 v15, s0, v45, v15
	v_mad_u64_u32 v[25:26], null, s3, v123, v[10:11]
	v_mad_u64_u32 v[26:27], null, s2, v124, 0
	v_mov_b32_e32 v22, v17
	v_add_co_ci_u32_e64 v16, s0, v46, v16, s0
	v_add_co_u32 v17, s0, v45, v18
	v_add_co_ci_u32_e64 v18, s0, v46, v19, s0
	v_mov_b32_e32 v10, v27
	v_lshlrev_b64 v[19:20], 4, v[21:22]
	v_mov_b32_e32 v21, v29
	v_mad_u64_u32 v[30:31], null, s2, v34, 0
	v_mad_u64_u32 v[22:23], null, s3, v124, v[10:11]
	v_lshlrev_b64 v[23:24], 4, v[24:25]
	v_add_co_u32 v19, s0, v45, v19
	v_add_co_ci_u32_e64 v20, s0, v46, v20, s0
	v_mov_b32_e32 v10, v31
	v_mad_u64_u32 v[32:33], null, s3, v129, v[21:22]
	v_mov_b32_e32 v27, v22
	v_mad_u64_u32 v[38:39], null, s2, v130, 0
	v_mad_u64_u32 v[21:22], null, s3, v34, v[10:11]
	;; [unrolled: 1-line block ×3, first 2 shown]
	v_mov_b32_e32 v29, v32
	v_mad_u64_u32 v[32:33], null, s2, v36, 0
	v_add_co_u32 v22, s0, v45, v23
	v_add_co_ci_u32_e64 v23, s0, v46, v24, s0
	v_lshlrev_b64 v[24:25], 4, v[26:27]
	v_lshlrev_b64 v[26:27], 4, v[28:29]
	v_mov_b32_e32 v10, v33
	v_mov_b32_e32 v28, v35
	;; [unrolled: 1-line block ×3, first 2 shown]
	v_add_nc_u32_e32 v43, 0xd48, v122
	v_add_co_u32 v24, s0, v45, v24
	v_mad_u64_u32 v[35:36], null, s3, v36, v[10:11]
	v_mad_u64_u32 v[28:29], null, s3, v127, v[28:29]
	v_mad_u64_u32 v[36:37], null, s2, v40, 0
	v_lshlrev_b64 v[29:30], 4, v[30:31]
	v_add_co_ci_u32_e64 v25, s0, v46, v25, s0
	v_add_co_u32 v26, s0, v45, v26
	v_mov_b32_e32 v33, v35
	v_mov_b32_e32 v35, v28
	v_add_co_ci_u32_e64 v27, s0, v46, v27, s0
	v_add_co_u32 v28, s0, v45, v29
	v_mov_b32_e32 v10, v37
	v_mov_b32_e32 v21, v39
	v_add_co_ci_u32_e64 v29, s0, v46, v30, s0
	v_lshlrev_b64 v[30:31], 4, v[32:33]
	v_lshlrev_b64 v[32:33], 4, v[34:35]
	v_mad_u64_u32 v[34:35], null, s2, v43, 0
	v_add_nc_u32_e32 v47, 0xed8, v122
	v_mad_u64_u32 v[39:40], null, s3, v40, v[10:11]
	v_mad_u64_u32 v[40:41], null, s3, v130, v[21:22]
	;; [unrolled: 1-line block ×3, first 2 shown]
	v_mov_b32_e32 v10, v35
	v_add_co_u32 v30, s0, v45, v30
	v_mov_b32_e32 v37, v39
	v_add_co_ci_u32_e64 v31, s0, v46, v31, s0
	v_mad_u64_u32 v[43:44], null, s3, v43, v[10:11]
	v_mov_b32_e32 v10, v42
	v_add_co_u32 v80, s0, v45, v32
	v_add_co_ci_u32_e64 v81, s0, v46, v33, s0
	v_lshlrev_b64 v[32:33], 4, v[36:37]
	v_mad_u64_u32 v[36:37], null, s3, v47, v[10:11]
	v_mov_b32_e32 v39, v40
	v_mov_b32_e32 v35, v43
	s_clause 0x1
	global_load_dwordx4 v[56:59], v[0:1], off
	global_load_dwordx4 v[52:55], v[2:3], off
	v_add_co_u32 v82, s0, v45, v32
	v_lshlrev_b64 v[37:38], 4, v[38:39]
	v_mov_b32_e32 v42, v36
	v_add_co_ci_u32_e64 v83, s0, v46, v33, s0
	v_lshlrev_b64 v[32:33], 4, v[34:35]
	v_mov_b32_e32 v133, v124
	v_add_co_u32 v84, s0, v45, v37
	v_lshlrev_b64 v[34:35], 4, v[41:42]
	v_add_co_ci_u32_e64 v85, s0, v46, v38, s0
	v_add_co_u32 v86, s0, v45, v32
	v_add_co_ci_u32_e64 v87, s0, v46, v33, s0
	v_add_co_u32 v0, s0, v45, v34
	v_add_co_ci_u32_e64 v1, s0, v46, v35, s0
	s_clause 0x11
	global_load_dwordx4 v[72:75], v[4:5], off
	global_load_dwordx4 v[64:67], v[6:7], off
	;; [unrolled: 1-line block ×18, first 2 shown]
	v_mov_b32_e32 v134, v120
	v_mov_b32_e32 v132, v121
	;; [unrolled: 1-line block ×3, first 2 shown]
.LBB0_13:
	s_or_b32 exec_lo, exec_lo, s1
	s_waitcnt vmcnt(17)
	v_add_f64 v[82:83], v[74:75], v[58:59]
	v_add_f64 v[80:81], v[72:73], v[56:57]
	s_waitcnt vmcnt(13)
	v_add_f64 v[84:85], v[68:69], v[76:77]
	s_waitcnt vmcnt(11)
	;; [unrolled: 2-line block ×3, first 2 shown]
	v_add_f64 v[90:91], v[42:43], v[66:67]
	v_add_f64 v[88:89], v[70:71], v[78:79]
	v_add_f64 v[94:95], v[78:79], -v[70:71]
	v_add_f64 v[108:109], v[74:75], -v[78:79]
	;; [unrolled: 1-line block ×3, first 2 shown]
	v_add_f64 v[116:117], v[50:51], v[46:47]
	v_add_f64 v[92:93], v[74:75], v[62:63]
	v_add_f64 v[96:97], v[72:73], -v[76:77]
	v_add_f64 v[98:99], v[60:61], -v[68:69]
	;; [unrolled: 1-line block ×6, first 2 shown]
	v_add_f64 v[141:142], v[48:49], v[44:45]
	v_add_f64 v[112:113], v[62:63], -v[70:71]
	v_add_f64 v[114:115], v[70:71], -v[62:63]
	;; [unrolled: 1-line block ×4, first 2 shown]
	v_add_f64 v[78:79], v[78:79], v[82:83]
	v_add_f64 v[76:77], v[76:77], v[80:81]
	;; [unrolled: 1-line block ×3, first 2 shown]
	v_add_f64 v[82:83], v[48:49], -v[44:45]
	v_fma_f64 v[90:91], v[90:91], -0.5, v[54:55]
	v_fma_f64 v[84:85], v[84:85], -0.5, v[56:57]
	;; [unrolled: 1-line block ×3, first 2 shown]
	v_add_f64 v[143:144], v[52:53], v[64:65]
	v_add_f64 v[86:87], v[54:55], v[66:67]
	v_add_f64 v[64:65], v[64:65], -v[40:41]
	v_fma_f64 v[54:55], v[116:117], -0.5, v[54:55]
	s_mov_b32 s10, 0x134454ff
	s_mov_b32 s11, 0xbfee6f0e
	;; [unrolled: 1-line block ×4, first 2 shown]
	v_add_f64 v[72:73], v[72:73], -v[60:61]
	v_add_f64 v[139:140], v[44:45], -v[40:41]
	v_fma_f64 v[88:89], v[88:89], -0.5, v[58:59]
	v_add_f64 v[116:117], v[46:47], -v[42:43]
	v_add_f64 v[147:148], v[66:67], -v[42:43]
	v_fma_f64 v[58:59], v[92:93], -0.5, v[58:59]
	v_fma_f64 v[141:142], v[141:142], -0.5, v[52:53]
	v_add_f64 v[70:71], v[70:71], v[78:79]
	v_add_f64 v[68:69], v[68:69], v[76:77]
	v_add_f64 v[76:77], v[50:51], -v[66:67]
	v_add_f64 v[78:79], v[50:51], -v[46:47]
	v_fma_f64 v[80:81], v[80:81], -0.5, v[52:53]
	v_fma_f64 v[145:146], v[82:83], s[10:11], v[90:91]
	v_fma_f64 v[149:150], v[74:75], s[10:11], v[84:85]
	;; [unrolled: 1-line block ×3, first 2 shown]
	v_add_f64 v[96:97], v[98:99], v[96:97]
	v_add_f64 v[98:99], v[102:103], v[100:101]
	v_fma_f64 v[100:101], v[94:95], s[4:5], v[56:57]
	v_fma_f64 v[56:57], v[94:95], s[10:11], v[56:57]
	v_add_f64 v[66:67], v[66:67], -v[50:51]
	v_add_f64 v[92:93], v[42:43], -v[46:47]
	v_add_f64 v[102:103], v[112:113], v[108:109]
	v_fma_f64 v[112:113], v[64:65], s[4:5], v[54:55]
	s_mov_b32 s14, 0x4755a5e
	s_mov_b32 s15, 0xbfe2cf23
	;; [unrolled: 1-line block ×4, first 2 shown]
	v_add_f64 v[135:136], v[40:41], -v[44:45]
	v_fma_f64 v[108:109], v[72:73], s[4:5], v[88:89]
	v_add_f64 v[52:53], v[62:63], v[70:71]
	v_fma_f64 v[62:63], v[82:83], s[4:5], v[90:91]
	v_add_f64 v[60:61], v[60:61], v[68:69]
	v_add_f64 v[70:71], v[116:117], v[76:77]
	v_fma_f64 v[68:69], v[78:79], s[4:5], v[80:81]
	v_fma_f64 v[76:77], v[64:65], s[6:7], v[145:146]
	;; [unrolled: 1-line block ×4, first 2 shown]
	v_add_f64 v[90:91], v[139:140], v[137:138]
	v_fma_f64 v[116:117], v[94:95], s[14:15], v[149:150]
	v_fma_f64 v[84:85], v[94:95], s[6:7], v[84:85]
	;; [unrolled: 1-line block ×6, first 2 shown]
	s_waitcnt vmcnt(3)
	v_add_f64 v[141:142], v[20:21], v[12:13]
	v_fma_f64 v[100:101], v[74:75], s[14:15], v[100:101]
	v_fma_f64 v[56:57], v[74:75], s[6:7], v[56:57]
	;; [unrolled: 1-line block ×3, first 2 shown]
	v_add_f64 v[48:49], v[48:49], v[143:144]
	v_add_f64 v[66:67], v[92:93], v[66:67]
	v_fma_f64 v[80:81], v[82:83], s[6:7], v[112:113]
	s_mov_b32 s16, 0x372fe950
	v_fma_f64 v[62:63], v[64:65], s[14:15], v[62:63]
	s_mov_b32 s17, 0x3fd3c6ef
	v_add_f64 v[50:51], v[50:51], v[86:87]
	v_fma_f64 v[64:65], v[147:148], s[14:15], v[68:69]
	v_fma_f64 v[68:69], v[70:71], s[16:17], v[76:77]
	;; [unrolled: 1-line block ×3, first 2 shown]
	v_add_f64 v[76:77], v[114:115], v[110:111]
	v_add_f64 v[82:83], v[135:136], v[118:119]
	v_fma_f64 v[86:87], v[106:107], s[6:7], v[108:109]
	v_fma_f64 v[88:89], v[106:107], s[14:15], v[88:89]
	;; [unrolled: 1-line block ×6, first 2 shown]
	v_fma_f64 v[94:95], v[141:142], -0.5, v[16:17]
	s_waitcnt vmcnt(1)
	v_add_f64 v[106:107], v[26:27], -v[6:7]
	v_fma_f64 v[108:109], v[96:97], s[16:17], v[116:117]
	v_fma_f64 v[74:75], v[147:148], s[6:7], v[74:75]
	v_add_f64 v[44:45], v[44:45], v[48:49]
	v_fma_f64 v[84:85], v[96:97], s[16:17], v[84:85]
	v_fma_f64 v[48:49], v[66:67], s[16:17], v[80:81]
	v_add_f64 v[96:97], v[22:23], -v[14:15]
	v_fma_f64 v[62:63], v[70:71], s[16:17], v[62:63]
	v_fma_f64 v[70:71], v[98:99], s[16:17], v[56:57]
	v_add_f64 v[46:47], v[46:47], v[50:51]
	v_fma_f64 v[56:57], v[90:91], s[16:17], v[64:65]
	v_mul_f64 v[64:65], v[68:69], s[10:11]
	v_fma_f64 v[54:55], v[66:67], s[16:17], v[54:55]
	v_fma_f64 v[50:51], v[98:99], s[16:17], v[100:101]
	v_add_f64 v[66:67], v[24:25], -v[20:21]
	v_fma_f64 v[86:87], v[102:103], s[16:17], v[86:87]
	v_fma_f64 v[88:89], v[102:103], s[16:17], v[88:89]
	;; [unrolled: 1-line block ×6, first 2 shown]
	v_add_f64 v[78:79], v[16:17], v[24:25]
	v_fma_f64 v[82:83], v[106:107], s[10:11], v[94:95]
	v_add_f64 v[102:103], v[10:11], v[30:31]
	v_fma_f64 v[74:75], v[90:91], s[16:17], v[74:75]
	v_add_f64 v[90:91], v[18:19], v[26:27]
	v_add_f64 v[80:81], v[4:5], -v[12:13]
	v_fma_f64 v[94:95], v[106:107], s[4:5], v[94:95]
	v_mul_f64 v[98:99], v[48:49], s[14:15]
	v_mul_f64 v[100:101], v[62:63], s[10:11]
	s_waitcnt vmcnt(0)
	v_add_f64 v[110:111], v[34:35], v[2:3]
	s_mov_b32 s18, 0x9b97f4a8
	s_mov_b32 s19, 0x3fe9e377
	;; [unrolled: 1-line block ×6, first 2 shown]
	v_mul_f64 v[112:113], v[54:55], s[14:15]
	v_add_f64 v[114:115], v[8:9], v[28:29]
	v_mul_f64 v[48:49], v[48:49], s[18:19]
	v_mul_f64 v[116:117], v[56:57], s[4:5]
	v_mul_f64 v[62:63], v[62:63], s[20:21]
	v_add_f64 v[118:119], v[32:33], v[0:1]
	v_add_f64 v[40:41], v[40:41], v[44:45]
	v_mul_f64 v[44:45], v[54:55], s[22:23]
	v_add_f64 v[46:47], v[42:43], v[46:47]
	v_fma_f64 v[42:43], v[56:57], s[16:17], v[64:65]
	v_add_f64 v[56:57], v[20:21], v[78:79]
	v_fma_f64 v[64:65], v[96:97], s[14:15], v[82:83]
	v_add_f64 v[78:79], v[22:23], v[90:91]
	v_fma_f64 v[82:83], v[102:103], -0.5, v[38:39]
	v_add_f64 v[90:91], v[32:33], -v[0:1]
	v_add_f64 v[54:55], v[80:81], v[66:67]
	v_fma_f64 v[66:67], v[96:97], s[6:7], v[94:95]
	v_fma_f64 v[80:81], v[58:59], s[18:19], v[98:99]
	;; [unrolled: 1-line block ×3, first 2 shown]
	v_fma_f64 v[98:99], v[110:111], -0.5, v[38:39]
	v_add_f64 v[100:101], v[28:29], -v[8:9]
	v_add_f64 v[38:39], v[34:35], v[38:39]
	v_fma_f64 v[102:103], v[72:73], s[22:23], v[112:113]
	v_fma_f64 v[110:111], v[114:115], -0.5, v[36:37]
	v_add_f64 v[112:113], v[34:35], -v[2:3]
	v_fma_f64 v[48:49], v[58:59], s[6:7], v[48:49]
	v_fma_f64 v[74:75], v[74:75], s[4:5], v[62:63]
	v_fma_f64 v[58:59], v[118:119], -0.5, v[36:37]
	v_add_f64 v[62:63], v[30:31], -v[10:11]
	v_fma_f64 v[72:73], v[72:73], s[6:7], v[44:45]
	v_add_f64 v[44:45], v[4:5], v[24:25]
	v_add_f64 v[114:115], v[22:23], v[14:15]
	;; [unrolled: 1-line block ×3, first 2 shown]
	v_add_f64 v[135:136], v[34:35], -v[30:31]
	v_add_f64 v[137:138], v[2:3], -v[10:11]
	v_fma_f64 v[68:69], v[68:69], s[16:17], v[116:117]
	v_fma_f64 v[139:140], v[90:91], s[4:5], v[82:83]
	v_add_f64 v[116:117], v[32:33], -v[28:29]
	v_add_f64 v[118:119], v[0:1], -v[8:9]
	;; [unrolled: 1-line block ×4, first 2 shown]
	v_fma_f64 v[82:83], v[90:91], s[10:11], v[82:83]
	v_fma_f64 v[143:144], v[100:101], s[10:11], v[98:99]
	;; [unrolled: 1-line block ×4, first 2 shown]
	v_add_f64 v[64:65], v[6:7], v[26:27]
	v_fma_f64 v[145:146], v[112:113], s[10:11], v[110:111]
	v_add_f64 v[32:33], v[28:29], -v[32:33]
	v_add_f64 v[149:150], v[8:9], -v[0:1]
	;; [unrolled: 1-line block ×3, first 2 shown]
	v_fma_f64 v[151:152], v[62:63], s[4:5], v[58:59]
	v_add_f64 v[24:25], v[24:25], -v[4:5]
	v_fma_f64 v[16:17], v[44:45], -0.5, v[16:17]
	v_fma_f64 v[44:45], v[114:115], -0.5, v[18:19]
	v_add_f64 v[28:29], v[28:29], v[36:37]
	v_add_f64 v[30:31], v[30:31], v[38:39]
	;; [unrolled: 1-line block ×3, first 2 shown]
	v_fma_f64 v[38:39], v[112:113], s[4:5], v[110:111]
	v_fma_f64 v[110:111], v[100:101], s[6:7], v[139:140]
	;; [unrolled: 1-line block ×3, first 2 shown]
	v_add_f64 v[114:115], v[118:119], v[116:117]
	v_add_f64 v[56:57], v[12:13], v[56:57]
	;; [unrolled: 1-line block ×3, first 2 shown]
	v_fma_f64 v[82:83], v[100:101], s[14:15], v[82:83]
	v_fma_f64 v[116:117], v[90:91], s[6:7], v[143:144]
	;; [unrolled: 1-line block ×3, first 2 shown]
	v_add_f64 v[20:21], v[20:21], -v[12:13]
	v_fma_f64 v[18:19], v[64:65], -0.5, v[18:19]
	v_fma_f64 v[98:99], v[62:63], s[14:15], v[145:146]
	v_add_f64 v[100:101], v[26:27], -v[22:23]
	v_add_f64 v[32:33], v[149:150], v[32:33]
	v_add_f64 v[22:23], v[22:23], -v[26:27]
	v_fma_f64 v[64:65], v[112:113], s[14:15], v[151:152]
	v_add_f64 v[12:13], v[12:13], -v[4:5]
	v_fma_f64 v[26:27], v[96:97], s[4:5], v[16:17]
	v_fma_f64 v[16:17], v[96:97], s[10:11], v[16:17]
	v_fma_f64 v[96:97], v[24:25], s[4:5], v[44:45]
	v_fma_f64 v[44:45], v[24:25], s[10:11], v[44:45]
	v_add_f64 v[8:9], v[8:9], v[28:29]
	v_fma_f64 v[28:29], v[62:63], s[6:7], v[38:39]
	v_fma_f64 v[38:39], v[36:37], s[16:17], v[110:111]
	v_add_f64 v[118:119], v[6:7], -v[14:15]
	v_fma_f64 v[58:59], v[112:113], s[6:7], v[58:59]
	v_add_f64 v[10:11], v[10:11], v[30:31]
	v_add_f64 v[78:79], v[14:15], v[78:79]
	v_fma_f64 v[36:37], v[36:37], s[16:17], v[82:83]
	v_fma_f64 v[30:31], v[34:35], s[16:17], v[116:117]
	;; [unrolled: 1-line block ×3, first 2 shown]
	v_add_f64 v[14:15], v[14:15], -v[6:7]
	v_add_f64 v[90:91], v[4:5], v[56:57]
	v_fma_f64 v[4:5], v[20:21], s[10:11], v[18:19]
	v_fma_f64 v[18:19], v[20:21], s[4:5], v[18:19]
	;; [unrolled: 1-line block ×5, first 2 shown]
	v_add_f64 v[56:57], v[12:13], v[153:154]
	v_fma_f64 v[26:27], v[106:107], s[14:15], v[26:27]
	v_fma_f64 v[16:17], v[106:107], s[6:7], v[16:17]
	;; [unrolled: 1-line block ×4, first 2 shown]
	v_add_f64 v[12:13], v[84:85], v[102:103]
	v_fma_f64 v[28:29], v[114:115], s[16:17], v[28:29]
	v_mul_f64 v[44:45], v[38:39], s[14:15]
	v_add_f64 v[66:67], v[118:119], v[100:101]
	v_fma_f64 v[32:33], v[32:33], s[16:17], v[58:59]
	v_add_f64 v[96:97], v[2:3], v[10:11]
	v_add_f64 v[98:99], v[6:7], v[78:79]
	v_mul_f64 v[106:107], v[36:37], s[14:15]
	v_mul_f64 v[58:59], v[30:31], s[10:11]
	;; [unrolled: 1-line block ×3, first 2 shown]
	v_add_f64 v[22:23], v[14:15], v[22:23]
	v_mul_f64 v[34:35], v[34:35], s[20:21]
	v_fma_f64 v[112:113], v[24:25], s[6:7], v[4:5]
	v_fma_f64 v[18:19], v[24:25], s[14:15], v[18:19]
	v_add_f64 v[78:79], v[0:1], v[8:9]
	v_add_f64 v[2:3], v[108:109], v[80:81]
	v_add_f64 v[4:5], v[108:109], -v[80:81]
	v_add_f64 v[0:1], v[40:41], v[60:61]
	v_mul_f64 v[24:25], v[54:55], s[4:5]
	v_add_f64 v[6:7], v[50:51], -v[42:43]
	v_add_f64 v[8:9], v[50:51], v[42:43]
	v_add_f64 v[14:15], v[60:61], -v[40:41]
	v_fma_f64 v[40:41], v[56:57], s[16:17], v[26:27]
	v_fma_f64 v[50:51], v[56:57], s[16:17], v[16:17]
	;; [unrolled: 1-line block ×3, first 2 shown]
	v_mul_f64 v[36:37], v[36:37], s[22:23]
	v_mul_f64 v[110:111], v[62:63], s[6:7]
	v_add_f64 v[10:11], v[70:71], v[94:95]
	v_add_f64 v[16:17], v[70:71], -v[94:95]
	v_fma_f64 v[106:107], v[28:29], s[22:23], v[106:107]
	v_fma_f64 v[108:109], v[54:55], s[16:17], v[58:59]
	;; [unrolled: 1-line block ×7, first 2 shown]
	v_add_f64 v[18:19], v[84:85], -v[102:103]
	v_add_f64 v[20:21], v[90:91], v[78:79]
	v_add_f64 v[42:43], v[46:47], v[52:53]
	v_add_f64 v[60:61], v[52:53], -v[46:47]
	v_fma_f64 v[118:119], v[30:31], s[16:17], v[24:25]
	v_add_f64 v[30:31], v[90:91], -v[78:79]
	v_fma_f64 v[114:115], v[66:67], s[16:17], v[64:65]
	v_add_f64 v[44:45], v[86:87], v[48:49]
	v_add_f64 v[56:57], v[76:77], v[74:75]
	v_add_f64 v[62:63], v[86:87], -v[48:49]
	v_add_f64 v[22:23], v[147:148], v[80:81]
	v_fma_f64 v[137:138], v[28:29], s[6:7], v[36:37]
	v_add_f64 v[32:33], v[147:148], -v[80:81]
	v_fma_f64 v[110:111], v[38:39], s[18:19], v[110:111]
	v_add_f64 v[66:67], v[76:77], -v[74:75]
	v_add_f64 v[28:29], v[82:83], v[106:107]
	v_add_f64 v[24:25], v[40:41], v[108:109]
	;; [unrolled: 1-line block ×3, first 2 shown]
	v_add_f64 v[34:35], v[40:41], -v[108:109]
	v_add_f64 v[36:37], v[50:51], -v[100:101]
	v_add_f64 v[38:39], v[82:83], -v[106:107]
	v_mul_u32_u24_e32 v40, 10, v122
	v_add_f64 v[76:77], v[112:113], v[135:136]
	v_add_f64 v[86:87], v[112:113], -v[135:136]
	v_add_f64 v[54:55], v[92:93], v[68:69]
	v_add_f64 v[58:59], v[88:89], v[72:73]
	v_lshl_add_u32 v46, v40, 3, 0
	v_mul_i32_i24_e32 v40, 10, v131
	v_add_f64 v[64:65], v[92:93], -v[68:69]
	v_add_f64 v[68:69], v[88:89], -v[72:73]
	v_add_f64 v[74:75], v[94:95], v[118:119]
	ds_write_b128 v46, v[0:3]
	v_lshl_add_u32 v135, v40, 3, 0
	ds_write_b128 v46, v[8:11] offset:16
	ds_write_b128 v46, v[12:15] offset:32
	;; [unrolled: 1-line block ×4, first 2 shown]
	ds_write_b128 v135, v[20:23]
	ds_write_b128 v135, v[24:27] offset:16
	ds_write_b128 v135, v[28:31] offset:32
	;; [unrolled: 1-line block ×4, first 2 shown]
	v_and_b32_e32 v28, 0xff, v122
	v_mov_b32_e32 v33, 0xcccd
	v_add_f64 v[78:79], v[116:117], v[137:138]
	v_add_f64 v[80:81], v[98:99], -v[96:97]
	v_add_f64 v[88:89], v[116:117], -v[137:138]
	v_mul_lo_u16 v32, 0xcd, v28
	v_add_f64 v[70:71], v[98:99], v[96:97]
	v_add_f64 v[72:73], v[114:115], v[110:111]
	v_add_f64 v[82:83], v[114:115], -v[110:111]
	v_add_f64 v[84:85], v[94:95], -v[118:119]
	v_lshrrev_b16 v49, 11, v32
	v_mul_u32_u24_sdwa v32, v131, v33 dst_sel:DWORD dst_unused:UNUSED_PAD src0_sel:WORD_0 src1_sel:DWORD
	v_mov_b32_e32 v48, 9
	v_mad_i32_i24 v136, 0xffffffb8, v122, v46
	v_lshl_add_u32 v137, v132, 3, 0
	v_mul_lo_u16 v33, v49, 10
	v_lshrrev_b32_e32 v50, 19, v32
	v_lshl_add_u32 v138, v134, 3, 0
	v_add_nc_u32_e32 v140, 0x1e00, v136
	v_add_nc_u32_e32 v139, 0x4400, v136
	v_sub_nc_u16 v52, v122, v33
	v_mul_lo_u16 v32, v50, 10
	v_add_nc_u32_e32 v145, 0x5000, v136
	v_add_nc_u32_e32 v141, 0x5d00, v136
	v_add_nc_u32_e32 v143, 0x2b00, v136
	v_add_nc_u32_e32 v142, 0x6a00, v136
	v_sub_nc_u16 v51, v131, v32
	v_mul_u32_u24_sdwa v32, v52, v48 dst_sel:DWORD dst_unused:UNUSED_PAD src0_sel:BYTE_0 src1_sel:DWORD
	v_mad_i32_i24 v146, 0xffffffb8, v131, v135
	v_add_nc_u32_e32 v144, 0x3800, v136
	s_waitcnt lgkmcnt(0)
	v_mul_u32_u24_sdwa v33, v51, v48 dst_sel:DWORD dst_unused:UNUSED_PAD src0_sel:WORD_0 src1_sel:DWORD
	v_lshlrev_b32_e32 v32, 4, v32
	s_barrier
	buffer_gl0_inv
	ds_read2_b64 v[24:27], v140 offset0:40 offset1:240
	ds_read2_b64 v[8:11], v143 offset0:24 offset1:224
	;; [unrolled: 1-line block ×3, first 2 shown]
	v_lshlrev_b32_e32 v33, 4, v33
	ds_read2_b64 v[0:3], v139 offset0:24 offset1:224
	ds_read2_b64 v[20:23], v145 offset0:40 offset1:240
	;; [unrolled: 1-line block ×4, first 2 shown]
	ds_read_b64 v[34:35], v138
	ds_read_b64 v[28:29], v146
	;; [unrolled: 1-line block ×3, first 2 shown]
	ds_read_b64 v[36:37], v136 offset:4800
	ds_read_b64 v[40:41], v137
	ds_read_b64 v[38:39], v136 offset:30400
	s_waitcnt lgkmcnt(0)
	s_barrier
	buffer_gl0_inv
	ds_write_b128 v46, v[42:45]
	ds_write_b128 v46, v[54:57] offset:16
	ds_write_b128 v46, v[58:61] offset:32
	;; [unrolled: 1-line block ×4, first 2 shown]
	ds_write_b128 v135, v[70:73]
	ds_write_b128 v135, v[74:77] offset:16
	ds_write_b128 v135, v[78:81] offset:32
	;; [unrolled: 1-line block ×4, first 2 shown]
	s_waitcnt lgkmcnt(0)
	s_barrier
	buffer_gl0_inv
	s_clause 0x11
	global_load_dwordx4 v[42:45], v32, s[8:9] offset:32
	global_load_dwordx4 v[53:56], v33, s[8:9] offset:16
	;; [unrolled: 1-line block ×15, first 2 shown]
	global_load_dwordx4 v[114:117], v32, s[8:9]
	global_load_dwordx4 v[147:150], v33, s[8:9]
	global_load_dwordx4 v[151:154], v33, s[8:9] offset:128
	ds_read2_b64 v[155:158], v140 offset0:40 offset1:240
	ds_read2_b64 v[159:162], v143 offset0:24 offset1:224
	;; [unrolled: 1-line block ×7, first 2 shown]
	ds_read_b64 v[185:186], v137
	ds_read_b64 v[187:188], v136 offset:30400
	ds_read_b64 v[189:190], v138
	ds_read_b64 v[32:33], v146
	v_cmp_gt_u32_e64 s0, 0x64, v122
	s_waitcnt vmcnt(17) lgkmcnt(10)
	v_mul_f64 v[46:47], v[157:158], v[44:45]
	v_mul_f64 v[44:45], v[26:27], v[44:45]
	s_waitcnt vmcnt(16)
	v_mul_f64 v[101:102], v[155:156], v[55:56]
	v_mul_f64 v[55:56], v[24:25], v[55:56]
	s_waitcnt vmcnt(15) lgkmcnt(9)
	v_mul_f64 v[118:119], v[161:162], v[59:60]
	v_mul_f64 v[59:60], v[10:11], v[59:60]
	s_waitcnt vmcnt(14)
	v_mul_f64 v[183:184], v[159:160], v[63:64]
	v_mul_f64 v[63:64], v[8:9], v[63:64]
	s_waitcnt vmcnt(13) lgkmcnt(8)
	v_mul_f64 v[191:192], v[165:166], v[67:68]
	v_fma_f64 v[193:194], v[26:27], v[42:43], v[46:47]
	v_fma_f64 v[157:158], v[157:158], v[42:43], -v[44:45]
	v_fma_f64 v[24:25], v[24:25], v[53:54], v[101:102]
	s_waitcnt vmcnt(12)
	v_mul_f64 v[46:47], v[163:164], v[71:72]
	v_fma_f64 v[42:43], v[155:156], v[53:54], -v[55:56]
	v_mul_f64 v[53:54], v[4:5], v[71:72]
	s_waitcnt vmcnt(11) lgkmcnt(7)
	v_mul_f64 v[55:56], v[169:170], v[75:76]
	v_mul_f64 v[26:27], v[6:7], v[67:68]
	;; [unrolled: 1-line block ×3, first 2 shown]
	s_waitcnt vmcnt(10)
	v_mul_f64 v[75:76], v[167:168], v[79:80]
	v_fma_f64 v[118:119], v[10:11], v[57:58], v[118:119]
	v_fma_f64 v[57:58], v[161:162], v[57:58], -v[59:60]
	v_mul_f64 v[59:60], v[0:1], v[79:80]
	s_waitcnt vmcnt(9) lgkmcnt(6)
	v_mul_f64 v[79:80], v[173:174], v[83:84]
	v_fma_f64 v[44:45], v[8:9], v[61:62], v[183:184]
	v_mul_f64 v[8:9], v[22:23], v[83:84]
	s_waitcnt vmcnt(8)
	v_mul_f64 v[83:84], v[171:172], v[87:88]
	v_fma_f64 v[10:11], v[159:160], v[61:62], -v[63:64]
	v_mul_f64 v[61:62], v[20:21], v[87:88]
	s_waitcnt vmcnt(7) lgkmcnt(1)
	v_mul_f64 v[63:64], v[189:190], v[91:92]
	v_mul_f64 v[87:88], v[34:35], v[91:92]
	s_waitcnt vmcnt(6)
	v_mul_f64 v[91:92], v[177:178], v[95:96]
	v_fma_f64 v[155:156], v[6:7], v[65:66], v[191:192]
	v_mul_f64 v[6:7], v[18:19], v[95:96]
	s_waitcnt vmcnt(5)
	v_mul_f64 v[95:96], v[175:176], v[99:100]
	v_fma_f64 v[159:160], v[4:5], v[69:70], v[46:47]
	v_mul_f64 v[4:5], v[16:17], v[99:100]
	s_waitcnt vmcnt(4)
	v_mul_f64 v[99:100], v[181:182], v[108:109]
	v_fma_f64 v[46:47], v[163:164], v[69:70], -v[53:54]
	v_mul_f64 v[53:54], v[14:15], v[108:109]
	s_waitcnt vmcnt(3)
	v_mul_f64 v[69:70], v[179:180], v[112:113]
	v_mul_f64 v[108:109], v[12:13], v[112:113]
	s_waitcnt vmcnt(2)
	v_mul_f64 v[112:113], v[185:186], v[116:117]
	v_fma_f64 v[55:56], v[2:3], v[73:74], v[55:56]
	v_mul_f64 v[2:3], v[40:41], v[116:117]
	ds_read_b64 v[67:68], v136 offset:4800
	ds_read_b64 v[101:102], v136
	v_fma_f64 v[65:66], v[165:166], v[65:66], -v[26:27]
	v_fma_f64 v[71:72], v[169:170], v[73:74], -v[71:72]
	v_fma_f64 v[26:27], v[0:1], v[77:78], v[75:76]
	s_waitcnt vmcnt(1)
	v_mul_f64 v[75:76], v[36:37], v[149:150]
	s_waitcnt vmcnt(0)
	v_mul_f64 v[116:117], v[187:188], v[153:154]
	v_fma_f64 v[34:35], v[34:35], v[89:90], v[63:64]
	v_mul_f64 v[63:64], v[38:39], v[153:154]
	v_fma_f64 v[91:92], v[18:19], v[93:94], v[91:92]
	v_fma_f64 v[18:19], v[167:168], v[77:78], -v[59:60]
	v_fma_f64 v[59:60], v[189:190], v[89:90], -v[87:88]
	;; [unrolled: 1-line block ×3, first 2 shown]
	v_fma_f64 v[22:23], v[22:23], v[81:82], v[79:80]
	v_fma_f64 v[79:80], v[173:174], v[81:82], -v[8:9]
	v_fma_f64 v[81:82], v[14:15], v[106:107], v[99:100]
	v_fma_f64 v[8:9], v[16:17], v[97:98], v[95:96]
	v_fma_f64 v[16:17], v[181:182], v[106:107], -v[53:54]
	v_fma_f64 v[20:21], v[20:21], v[85:86], v[83:84]
	v_fma_f64 v[14:15], v[171:172], v[85:86], -v[61:62]
	s_waitcnt lgkmcnt(1)
	v_mul_f64 v[73:74], v[67:68], v[149:150]
	v_fma_f64 v[40:41], v[40:41], v[114:115], v[112:113]
	v_fma_f64 v[53:54], v[185:186], v[114:115], -v[2:3]
	v_fma_f64 v[6:7], v[175:176], v[97:98], -v[4:5]
	v_fma_f64 v[12:13], v[12:13], v[110:111], v[69:70]
	v_fma_f64 v[0:1], v[179:180], v[110:111], -v[108:109]
	v_add_f64 v[87:88], v[193:194], -v[155:156]
	v_fma_f64 v[61:62], v[67:68], v[147:148], -v[75:76]
	v_fma_f64 v[4:5], v[38:39], v[151:152], v[116:117]
	v_add_f64 v[93:94], v[155:156], -v[193:194]
	v_fma_f64 v[2:3], v[187:188], v[151:152], -v[63:64]
	v_add_f64 v[97:98], v[157:158], -v[65:66]
	v_add_f64 v[110:111], v[30:31], v[34:35]
	v_add_f64 v[83:84], v[57:58], -v[59:60]
	v_add_f64 v[85:86], v[71:72], -v[77:78]
	v_add_f64 v[116:117], v[118:119], v[55:56]
	v_add_f64 v[149:150], v[57:58], v[71:72]
	v_add_f64 v[89:90], v[81:82], -v[22:23]
	v_add_f64 v[95:96], v[22:23], -v[81:82]
	;; [unrolled: 1-line block ×3, first 2 shown]
	v_add_f64 v[151:152], v[59:60], v[77:78]
	s_waitcnt lgkmcnt(0)
	v_add_f64 v[153:154], v[101:102], v[59:60]
	v_fma_f64 v[36:37], v[36:37], v[147:148], v[73:74]
	v_add_f64 v[147:148], v[34:35], v[91:92]
	v_add_f64 v[161:162], v[155:156], v[22:23]
	v_add_f64 v[163:164], v[193:194], v[81:82]
	v_add_f64 v[165:166], v[40:41], v[193:194]
	v_add_f64 v[167:168], v[53:54], v[157:158]
	v_add_f64 v[38:39], v[34:35], -v[118:119]
	v_add_f64 v[67:68], v[118:119], -v[34:35]
	;; [unrolled: 1-line block ×9, first 2 shown]
	v_add_f64 v[175:176], v[65:66], v[79:80]
	v_add_f64 v[177:178], v[157:158], v[16:17]
	;; [unrolled: 1-line block ×4, first 2 shown]
	v_add_f64 v[34:35], v[34:35], -v[91:92]
	v_add_f64 v[183:184], v[118:119], -v[55:56]
	;; [unrolled: 1-line block ×4, first 2 shown]
	v_add_f64 v[110:111], v[110:111], v[118:119]
	v_fma_f64 v[116:117], v[116:117], -0.5, v[30:31]
	v_add_f64 v[83:84], v[83:84], v[85:86]
	v_fma_f64 v[30:31], v[147:148], -0.5, v[30:31]
	v_add_f64 v[85:86], v[87:88], v[89:90]
	v_add_f64 v[57:58], v[153:154], v[57:58]
	;; [unrolled: 1-line block ×3, first 2 shown]
	v_fma_f64 v[89:90], v[149:150], -0.5, v[101:102]
	v_add_f64 v[93:94], v[93:94], v[95:96]
	v_add_f64 v[65:66], v[167:168], v[65:66]
	v_fma_f64 v[95:96], v[151:152], -0.5, v[101:102]
	v_add_f64 v[97:98], v[97:98], v[99:100]
	v_fma_f64 v[99:100], v[161:162], -0.5, v[40:41]
	v_fma_f64 v[40:41], v[163:164], -0.5, v[40:41]
	v_add_f64 v[63:64], v[91:92], -v[55:56]
	v_add_f64 v[69:70], v[55:56], -v[91:92]
	;; [unrolled: 1-line block ×7, first 2 shown]
	v_add_f64 v[195:196], v[28:29], v[24:25]
	v_add_f64 v[101:102], v[106:107], v[108:109]
	;; [unrolled: 1-line block ×3, first 2 shown]
	v_fma_f64 v[108:109], v[175:176], -0.5, v[53:54]
	v_fma_f64 v[53:54], v[177:178], -0.5, v[53:54]
	;; [unrolled: 1-line block ×4, first 2 shown]
	v_add_f64 v[55:56], v[110:111], v[55:56]
	v_fma_f64 v[110:111], v[59:60], s[10:11], v[116:117]
	v_fma_f64 v[116:117], v[59:60], s[4:5], v[116:117]
	;; [unrolled: 1-line block ×4, first 2 shown]
	v_add_f64 v[57:58], v[57:58], v[71:72]
	v_add_f64 v[22:23], v[87:88], v[22:23]
	v_fma_f64 v[71:72], v[34:35], s[4:5], v[89:90]
	v_fma_f64 v[87:88], v[34:35], s[10:11], v[89:90]
	v_add_f64 v[65:66], v[65:66], v[79:80]
	v_fma_f64 v[79:80], v[183:184], s[10:11], v[95:96]
	v_fma_f64 v[89:90], v[183:184], s[4:5], v[95:96]
	;; [unrolled: 1-line block ×5, first 2 shown]
	v_add_f64 v[169:170], v[159:160], -v[24:25]
	v_add_f64 v[171:172], v[20:21], -v[12:13]
	v_add_f64 v[38:39], v[38:39], v[63:64]
	v_add_f64 v[67:68], v[67:68], v[69:70]
	v_add_f64 v[69:70], v[18:19], v[6:7]
	v_add_f64 v[73:74], v[73:74], v[75:76]
	v_fma_f64 v[99:100], v[157:158], s[4:5], v[99:100]
	v_fma_f64 v[151:152], v[189:190], s[4:5], v[108:109]
	;; [unrolled: 1-line block ×9, first 2 shown]
	v_add_f64 v[55:56], v[55:56], v[91:92]
	v_fma_f64 v[91:92], v[173:174], s[14:15], v[110:111]
	v_fma_f64 v[110:111], v[173:174], s[6:7], v[116:117]
	;; [unrolled: 1-line block ×4, first 2 shown]
	v_add_f64 v[57:58], v[57:58], v[77:78]
	v_fma_f64 v[59:60], v[183:184], s[6:7], v[71:72]
	v_fma_f64 v[71:72], v[183:184], s[14:15], v[87:88]
	;; [unrolled: 1-line block ×6, first 2 shown]
	v_add_f64 v[22:23], v[22:23], v[81:82]
	v_add_f64 v[16:17], v[65:66], v[16:17]
	;; [unrolled: 1-line block ×3, first 2 shown]
	v_fma_f64 v[40:41], v[157:158], s[6:7], v[40:41]
	v_add_f64 v[197:198], v[42:43], v[0:1]
	v_add_f64 v[199:200], v[26:27], v[8:9]
	;; [unrolled: 1-line block ×4, first 2 shown]
	v_fma_f64 v[87:88], v[187:188], s[6:7], v[99:100]
	v_fma_f64 v[95:96], v[185:186], s[6:7], v[151:152]
	;; [unrolled: 1-line block ×17, first 2 shown]
	v_add_f64 v[89:90], v[55:56], v[22:23]
	v_add_f64 v[22:23], v[55:56], -v[22:23]
	v_add_f64 v[55:56], v[57:58], v[16:17]
	v_add_f64 v[57:58], v[57:58], -v[16:17]
	v_add_f64 v[16:17], v[44:45], -v[4:5]
	v_fma_f64 v[69:70], v[69:70], -0.5, v[61:62]
	v_add_f64 v[63:64], v[44:45], v[4:5]
	v_fma_f64 v[40:41], v[93:94], s[16:17], v[40:41]
	v_add_f64 v[93:94], v[26:27], -v[8:9]
	v_fma_f64 v[75:76], v[75:76], -0.5, v[61:62]
	v_fma_f64 v[71:72], v[83:84], s[16:17], v[77:78]
	v_fma_f64 v[34:35], v[83:84], s[16:17], v[34:35]
	;; [unrolled: 1-line block ×8, first 2 shown]
	v_add_f64 v[95:96], v[46:47], v[14:15]
	v_add_f64 v[97:98], v[118:119], v[20:21]
	v_fma_f64 v[81:82], v[106:107], s[16:17], v[81:82]
	v_add_f64 v[99:100], v[32:33], v[42:43]
	v_fma_f64 v[101:102], v[112:113], s[16:17], v[114:115]
	v_add_f64 v[20:21], v[159:160], -v[20:21]
	v_add_f64 v[106:107], v[46:47], -v[42:43]
	;; [unrolled: 1-line block ×3, first 2 shown]
	v_fma_f64 v[114:115], v[197:198], -0.5, v[32:33]
	v_fma_f64 v[28:29], v[112:113], s[16:17], v[28:29]
	v_fma_f64 v[112:113], v[199:200], -0.5, v[36:37]
	v_add_f64 v[116:117], v[10:11], -v[2:3]
	v_add_f64 v[118:119], v[10:11], -v[18:19]
	;; [unrolled: 1-line block ×3, first 2 shown]
	v_fma_f64 v[155:156], v[16:17], s[4:5], v[69:70]
	v_fma_f64 v[63:64], v[63:64], -0.5, v[36:37]
	v_add_f64 v[149:150], v[18:19], -v[10:11]
	v_add_f64 v[151:152], v[6:7], -v[2:3]
	v_add_f64 v[153:154], v[18:19], -v[6:7]
	v_fma_f64 v[157:158], v[93:94], s[10:11], v[75:76]
	v_fma_f64 v[75:76], v[93:94], s[4:5], v[75:76]
	;; [unrolled: 1-line block ×3, first 2 shown]
	v_add_f64 v[24:25], v[24:25], -v[12:13]
	v_fma_f64 v[32:33], v[95:96], -0.5, v[32:33]
	v_add_f64 v[12:13], v[97:98], v[12:13]
	v_add_f64 v[95:96], v[99:100], v[46:47]
	v_add_f64 v[97:98], v[44:45], -v[26:27]
	v_add_f64 v[99:100], v[4:5], -v[8:9]
	;; [unrolled: 1-line block ×3, first 2 shown]
	v_add_f64 v[46:47], v[106:107], v[108:109]
	v_fma_f64 v[106:107], v[20:21], s[10:11], v[114:115]
	v_fma_f64 v[108:109], v[20:21], s[4:5], v[114:115]
	v_mul_f64 v[114:115], v[83:84], s[14:15]
	v_fma_f64 v[159:160], v[116:117], s[10:11], v[112:113]
	v_add_f64 v[36:37], v[36:37], v[44:45]
	v_add_f64 v[118:119], v[118:119], v[147:148]
	v_fma_f64 v[155:156], v[93:94], s[6:7], v[155:156]
	v_add_f64 v[44:45], v[26:27], -v[44:45]
	v_add_f64 v[147:148], v[8:9], -v[4:5]
	v_add_f64 v[149:150], v[149:150], v[151:152]
	v_fma_f64 v[151:152], v[153:154], s[4:5], v[63:64]
	v_fma_f64 v[63:64], v[153:154], s[10:11], v[63:64]
	;; [unrolled: 1-line block ×6, first 2 shown]
	v_add_f64 v[10:11], v[61:62], v[10:11]
	v_mul_f64 v[83:84], v[83:84], s[18:19]
	v_mul_f64 v[93:94], v[87:88], s[10:11]
	v_add_f64 v[61:62], v[97:98], v[99:100]
	v_mul_f64 v[87:88], v[87:88], s[16:17]
	v_mul_f64 v[97:98], v[53:54], s[10:11]
	;; [unrolled: 1-line block ×5, first 2 shown]
	v_fma_f64 v[114:115], v[73:74], s[18:19], v[114:115]
	v_fma_f64 v[159:160], v[153:154], s[14:15], v[159:160]
	v_add_f64 v[26:27], v[36:37], v[26:27]
	v_fma_f64 v[36:37], v[118:119], s[16:17], v[155:156]
	v_fma_f64 v[75:76], v[24:25], s[4:5], v[32:33]
	v_add_f64 v[44:45], v[44:45], v[147:148]
	v_fma_f64 v[32:33], v[24:25], s[10:11], v[32:33]
	v_fma_f64 v[147:148], v[116:117], s[14:15], v[151:152]
	;; [unrolled: 1-line block ×7, first 2 shown]
	v_add_f64 v[10:11], v[10:11], v[18:19]
	v_add_f64 v[116:117], v[0:1], -v[14:15]
	v_fma_f64 v[106:107], v[24:25], s[6:7], v[106:107]
	v_fma_f64 v[18:19], v[24:25], s[14:15], v[108:109]
	;; [unrolled: 1-line block ×9, first 2 shown]
	v_add_f64 v[85:86], v[91:92], v[114:115]
	v_add_f64 v[87:88], v[91:92], -v[114:115]
	v_fma_f64 v[91:92], v[61:62], s[16:17], v[159:160]
	v_add_f64 v[8:9], v[26:27], v[8:9]
	v_mul_f64 v[26:27], v[36:37], s[14:15]
	v_add_f64 v[14:15], v[95:96], v[14:15]
	v_fma_f64 v[93:94], v[44:45], s[16:17], v[147:148]
	v_mul_f64 v[95:96], v[151:152], s[10:11]
	v_fma_f64 v[44:45], v[44:45], s[16:17], v[63:64]
	v_mul_f64 v[63:64], v[16:17], s[10:11]
	;; [unrolled: 2-line block ×3, first 2 shown]
	v_add_f64 v[6:7], v[10:11], v[6:7]
	v_add_f64 v[42:43], v[42:43], v[116:117]
	v_mul_f64 v[10:11], v[36:37], s[18:19]
	v_fma_f64 v[36:37], v[20:21], s[6:7], v[75:76]
	v_mul_f64 v[16:17], v[16:17], s[20:21]
	v_fma_f64 v[20:21], v[20:21], s[14:15], v[32:33]
	v_add_f64 v[99:100], v[30:31], v[83:84]
	v_add_f64 v[30:31], v[30:31], -v[83:84]
	v_mul_f64 v[83:84], v[151:152], s[16:17]
	v_mul_f64 v[32:33], v[69:70], s[22:23]
	v_add_f64 v[108:109], v[38:39], v[53:54]
	v_add_f64 v[38:39], v[38:39], -v[53:54]
	v_add_f64 v[53:54], v[59:60], v[24:25]
	v_add_f64 v[4:5], v[8:9], v[4:5]
	v_fma_f64 v[8:9], v[91:92], s[18:19], v[26:27]
	v_add_f64 v[59:60], v[59:60], -v[24:25]
	v_add_f64 v[0:1], v[14:15], v[0:1]
	v_fma_f64 v[26:27], v[93:94], s[16:17], v[95:96]
	v_add_f64 v[75:76], v[110:111], v[73:74]
	v_fma_f64 v[24:25], v[44:45], s[20:21], v[63:64]
	v_add_f64 v[73:74], v[110:111], -v[73:74]
	v_fma_f64 v[69:70], v[61:62], s[22:23], v[97:98]
	v_add_f64 v[2:3], v[6:7], v[2:3]
	v_add_f64 v[63:64], v[71:72], v[79:80]
	v_fma_f64 v[6:7], v[91:92], s[6:7], v[10:11]
	v_fma_f64 v[10:11], v[42:43], s[16:17], v[36:37]
	v_add_f64 v[36:37], v[71:72], -v[79:80]
	v_add_f64 v[71:72], v[34:35], v[40:41]
	v_add_f64 v[34:35], v[34:35], -v[40:41]
	v_fma_f64 v[14:15], v[46:47], s[16:17], v[106:107]
	v_fma_f64 v[40:41], v[93:94], s[4:5], v[83:84]
	;; [unrolled: 1-line block ×6, first 2 shown]
	v_add_f64 v[42:43], v[12:13], v[4:5]
	v_add_f64 v[61:62], v[65:66], v[8:9]
	;; [unrolled: 1-line block ×3, first 2 shown]
	v_add_f64 v[46:47], v[67:68], -v[77:78]
	v_add_f64 v[67:68], v[101:102], v[26:27]
	v_add_f64 v[4:5], v[12:13], -v[4:5]
	v_add_f64 v[12:13], v[28:29], v[24:25]
	;; [unrolled: 2-line block ×3, first 2 shown]
	v_add_f64 v[77:78], v[0:1], v[2:3]
	v_add_f64 v[79:80], v[0:1], -v[2:3]
	v_mov_b32_e32 v0, 0x320
	v_mov_b32_e32 v147, 3
	v_add_f64 v[26:27], v[101:102], -v[26:27]
	v_add_f64 v[24:25], v[28:29], -v[24:25]
	;; [unrolled: 1-line block ×3, first 2 shown]
	v_mul_u32_u24_sdwa v0, v49, v0 dst_sel:DWORD dst_unused:UNUSED_PAD src0_sel:WORD_0 src1_sel:DWORD
	v_lshlrev_b32_sdwa v1, v147, v52 dst_sel:DWORD dst_unused:UNUSED_PAD src0_sel:DWORD src1_sel:BYTE_0
	s_barrier
	buffer_gl0_inv
	v_add_f64 v[28:29], v[10:11], v[6:7]
	v_add3_u32 v49, 0, v0, v1
	v_mul_u32_u24_e32 v0, 0x320, v50
	v_lshlrev_b32_sdwa v1, v147, v51 dst_sel:DWORD dst_unused:UNUSED_PAD src0_sel:DWORD src1_sel:WORD_0
	v_add_f64 v[81:82], v[14:15], v[40:41]
	v_add_f64 v[91:92], v[18:19], v[16:17]
	ds_write2_b64 v49, v[89:90], v[85:86] offset1:10
	v_add_f64 v[93:94], v[20:21], v[32:33]
	v_add3_u32 v50, 0, v0, v1
	ds_write2_b64 v49, v[75:76], v[99:100] offset0:20 offset1:30
	ds_write2_b64 v49, v[108:109], v[22:23] offset0:40 offset1:50
	;; [unrolled: 1-line block ×4, first 2 shown]
	ds_write2_b64 v50, v[42:43], v[61:62] offset1:10
	ds_write2_b64 v50, v[67:68], v[12:13] offset0:20 offset1:30
	ds_write2_b64 v50, v[65:66], v[4:5] offset0:40 offset1:50
	;; [unrolled: 1-line block ×4, first 2 shown]
	v_add_nc_u32_e32 v30, 0xffffff9c, v122
	v_lshrrev_b16 v31, 2, v131
	v_mov_b32_e32 v38, 0x147b
	v_add_f64 v[83:84], v[10:11], -v[6:7]
	v_add_f64 v[40:41], v[14:15], -v[40:41]
	v_cndmask_b32_e64 v148, v30, v122, s0
	v_add_f64 v[95:96], v[18:19], -v[16:17]
	v_mul_u32_u24_sdwa v30, v31, v38 dst_sel:DWORD dst_unused:UNUSED_PAD src0_sel:WORD_0 src1_sel:DWORD
	v_add_f64 v[32:33], v[20:21], -v[32:33]
	s_waitcnt lgkmcnt(0)
	s_barrier
	buffer_gl0_inv
	v_lshrrev_b32_e32 v149, 17, v30
	ds_read2_b64 v[24:27], v140 offset0:40 offset1:240
	ds_read2_b64 v[20:23], v143 offset0:24 offset1:224
	;; [unrolled: 1-line block ×7, first 2 shown]
	ds_read_b64 v[118:119], v138
	ds_read_b64 v[108:109], v146
	;; [unrolled: 1-line block ×3, first 2 shown]
	ds_read_b64 v[112:113], v136 offset:4800
	ds_read_b64 v[114:115], v137
	ds_read_b64 v[116:117], v136 offset:30400
	s_waitcnt lgkmcnt(0)
	s_barrier
	buffer_gl0_inv
	ds_write2_b64 v49, v[55:56], v[53:54] offset1:10
	v_mul_i32_i24_e32 v106, 9, v148
	v_mov_b32_e32 v107, 0
	ds_write2_b64 v49, v[63:64], v[71:72] offset0:20 offset1:30
	ds_write2_b64 v49, v[44:45], v[57:58] offset0:40 offset1:50
	;; [unrolled: 1-line block ×4, first 2 shown]
	v_mul_lo_u16 v34, 0x64, v149
	ds_write2_b64 v50, v[77:78], v[28:29] offset1:10
	ds_write2_b64 v50, v[81:82], v[91:92] offset0:20 offset1:30
	ds_write2_b64 v50, v[93:94], v[79:80] offset0:40 offset1:50
	;; [unrolled: 1-line block ×3, first 2 shown]
	v_lshlrev_b64 v[30:31], 4, v[106:107]
	v_lshlrev_b32_e32 v148, 3, v148
	v_mul_u32_u24_e32 v158, 0x1f40, v149
	v_sub_nc_u16 v106, v131, v34
	ds_write2_b64 v50, v[95:96], v[32:33] offset0:80 offset1:90
	v_add_co_u32 v72, s0, s8, v30
	v_mul_u32_u24_sdwa v28, v106, v48 dst_sel:DWORD dst_unused:UNUSED_PAD src0_sel:WORD_0 src1_sel:DWORD
	v_add_co_ci_u32_e64 v73, s0, s9, v31, s0
	s_waitcnt lgkmcnt(0)
	s_barrier
	v_lshlrev_b32_e32 v74, 4, v28
	buffer_gl0_inv
	s_clause 0x11
	global_load_dwordx4 v[52:55], v[72:73], off offset:1472
	global_load_dwordx4 v[56:59], v74, s[8:9] offset:1456
	global_load_dwordx4 v[48:51], v[72:73], off offset:1488
	global_load_dwordx4 v[44:47], v74, s[8:9] offset:1472
	;; [unrolled: 2-line block ×5, first 2 shown]
	global_load_dwordx4 v[96:99], v[72:73], off offset:1568
	global_load_dwordx4 v[68:71], v[72:73], off offset:1456
	;; [unrolled: 1-line block ×3, first 2 shown]
	global_load_dwordx4 v[88:91], v74, s[8:9] offset:1536
	global_load_dwordx4 v[84:87], v74, s[8:9] offset:1552
	global_load_dwordx4 v[76:79], v[72:73], off offset:1440
	global_load_dwordx4 v[80:83], v74, s[8:9] offset:1568
	global_load_dwordx4 v[72:75], v74, s[8:9] offset:1440
	ds_read2_b64 v[100:103], v140 offset0:40 offset1:240
	ds_read2_b64 v[150:153], v143 offset0:24 offset1:224
	v_cmp_lt_u32_e64 s0, 0x63, v122
	v_lshlrev_b32_sdwa v106, v147, v106 dst_sel:DWORD dst_unused:UNUSED_PAD src0_sel:DWORD src1_sel:WORD_0
	v_lshl_add_u32 v147, v133, 3, 0
	v_cndmask_b32_e64 v154, 0, 0x1f40, s0
	v_add3_u32 v106, 0, v158, v106
	v_add3_u32 v190, 0, v154, v148
	ds_read2_b64 v[154:157], v144 offset0:8 offset1:208
	ds_read2_b64 v[158:161], v139 offset0:24 offset1:224
	;; [unrolled: 1-line block ×5, first 2 shown]
	ds_read_b64 v[180:181], v138
	v_add_nc_u32_e32 v191, 0x400, v190
	v_add_nc_u32_e32 v192, 0x800, v190
	;; [unrolled: 1-line block ×8, first 2 shown]
	s_waitcnt vmcnt(17) lgkmcnt(7)
	v_mul_f64 v[148:149], v[102:103], v[54:55]
	v_mul_f64 v[54:55], v[26:27], v[54:55]
	s_waitcnt vmcnt(16)
	v_mul_f64 v[174:175], v[100:101], v[58:59]
	s_waitcnt vmcnt(14) lgkmcnt(6)
	v_mul_f64 v[178:179], v[150:151], v[46:47]
	v_mul_f64 v[46:47], v[20:21], v[46:47]
	;; [unrolled: 1-line block ×5, first 2 shown]
	s_waitcnt vmcnt(13) lgkmcnt(5)
	v_mul_f64 v[182:183], v[156:157], v[42:43]
	v_mul_f64 v[42:43], v[18:19], v[42:43]
	v_fma_f64 v[26:27], v[26:27], v[52:53], v[148:149]
	v_fma_f64 v[52:53], v[102:103], v[52:53], -v[54:55]
	s_waitcnt vmcnt(12)
	v_mul_f64 v[54:55], v[154:155], v[34:35]
	v_mul_f64 v[34:35], v[16:17], v[34:35]
	v_fma_f64 v[20:21], v[20:21], v[44:45], v[178:179]
	v_fma_f64 v[44:45], v[150:151], v[44:45], -v[46:47]
	s_waitcnt vmcnt(9) lgkmcnt(3)
	v_mul_f64 v[46:47], v[164:165], v[66:67]
	v_mul_f64 v[66:67], v[10:11], v[66:67]
	v_fma_f64 v[24:25], v[24:25], v[56:57], v[174:175]
	v_fma_f64 v[56:57], v[100:101], v[56:57], -v[58:59]
	ds_read_b64 v[58:59], v137
	ds_read_b64 v[100:101], v136 offset:30400
	ds_read_b64 v[102:103], v136 offset:4800
	ds_read_b64 v[148:149], v136
	ds_read_b64 v[174:175], v146
	v_fma_f64 v[22:23], v[22:23], v[48:49], v[176:177]
	v_fma_f64 v[48:49], v[152:153], v[48:49], -v[50:51]
	v_mul_f64 v[50:51], v[160:161], v[30:31]
	v_mul_f64 v[152:153], v[158:159], v[38:39]
	;; [unrolled: 1-line block ×3, first 2 shown]
	s_waitcnt vmcnt(8)
	v_mul_f64 v[150:151], v[162:163], v[62:63]
	s_waitcnt vmcnt(7) lgkmcnt(6)
	v_mul_f64 v[176:177], v[172:173], v[98:99]
	v_fma_f64 v[18:19], v[18:19], v[40:41], v[182:183]
	v_fma_f64 v[40:41], v[156:157], v[40:41], -v[42:43]
	v_mul_f64 v[42:43], v[2:3], v[98:99]
	v_mul_f64 v[62:63], v[8:9], v[62:63]
	s_waitcnt vmcnt(5)
	v_mul_f64 v[98:99], v[168:169], v[94:95]
	v_mul_f64 v[30:31], v[14:15], v[30:31]
	v_fma_f64 v[16:17], v[16:17], v[32:33], v[54:55]
	s_waitcnt lgkmcnt(5)
	v_mul_f64 v[54:55], v[180:181], v[70:71]
	v_fma_f64 v[32:33], v[154:155], v[32:33], -v[34:35]
	v_mul_f64 v[34:35], v[6:7], v[94:95]
	s_waitcnt vmcnt(4)
	v_mul_f64 v[94:95], v[166:167], v[90:91]
	v_fma_f64 v[10:11], v[10:11], v[64:65], v[46:47]
	v_fma_f64 v[46:47], v[164:165], v[64:65], -v[66:67]
	s_waitcnt vmcnt(1) lgkmcnt(3)
	v_mul_f64 v[64:65], v[100:101], v[82:83]
	v_mul_f64 v[90:91], v[4:5], v[90:91]
	;; [unrolled: 1-line block ×5, first 2 shown]
	v_fma_f64 v[14:15], v[14:15], v[28:29], v[50:51]
	v_mul_f64 v[50:51], v[58:59], v[78:79]
	v_fma_f64 v[12:13], v[12:13], v[36:37], v[152:153]
	v_mul_f64 v[78:79], v[114:115], v[78:79]
	s_waitcnt vmcnt(0) lgkmcnt(2)
	v_mul_f64 v[82:83], v[102:103], v[74:75]
	v_mul_f64 v[74:75], v[112:113], v[74:75]
	v_fma_f64 v[36:37], v[158:159], v[36:37], -v[38:39]
	v_fma_f64 v[38:39], v[162:163], v[60:61], -v[62:63]
	v_fma_f64 v[6:7], v[6:7], v[92:93], v[98:99]
	v_fma_f64 v[8:9], v[8:9], v[60:61], v[150:151]
	v_fma_f64 v[28:29], v[160:161], v[28:29], -v[30:31]
	v_fma_f64 v[54:55], v[118:119], v[68:69], v[54:55]
	v_mul_f64 v[30:31], v[0:1], v[86:87]
	v_fma_f64 v[2:3], v[2:3], v[96:97], v[176:177]
	v_fma_f64 v[4:5], v[4:5], v[88:89], v[94:95]
	v_fma_f64 v[42:43], v[172:173], v[96:97], -v[42:43]
	v_fma_f64 v[34:35], v[168:169], v[92:93], -v[34:35]
	v_fma_f64 v[62:63], v[116:117], v[80:81], v[64:65]
	v_fma_f64 v[60:61], v[166:167], v[88:89], -v[90:91]
	v_fma_f64 v[64:65], v[100:101], v[80:81], -v[66:67]
	;; [unrolled: 1-line block ×3, first 2 shown]
	v_fma_f64 v[0:1], v[0:1], v[84:85], v[154:155]
	v_add_f64 v[80:81], v[52:53], -v[40:41]
	v_fma_f64 v[50:51], v[114:115], v[76:77], v[50:51]
	v_add_f64 v[118:119], v[12:13], -v[20:21]
	v_fma_f64 v[58:59], v[58:59], v[76:77], -v[78:79]
	v_fma_f64 v[68:69], v[112:113], v[72:73], v[82:83]
	v_fma_f64 v[70:71], v[102:103], v[72:73], -v[74:75]
	v_add_f64 v[156:157], v[36:37], -v[44:45]
	v_add_f64 v[86:87], v[18:19], -v[26:27]
	;; [unrolled: 1-line block ×6, first 2 shown]
	v_fma_f64 v[30:31], v[170:171], v[84:85], -v[30:31]
	v_add_f64 v[88:89], v[22:23], -v[54:55]
	v_add_f64 v[92:93], v[10:11], -v[2:3]
	v_add_f64 v[82:83], v[42:43], -v[46:47]
	v_add_f64 v[96:97], v[46:47], -v[42:43]
	v_add_f64 v[150:151], v[4:5], -v[62:63]
	v_add_f64 v[76:77], v[26:27], -v[18:19]
	v_add_f64 v[158:159], v[60:61], -v[64:65]
	v_add_f64 v[78:79], v[2:3], -v[10:11]
	v_add_f64 v[114:115], v[44:45], -v[36:37]
	v_add_f64 v[116:117], v[64:65], -v[60:61]
	v_add_f64 v[160:161], v[66:67], -v[48:49]
	v_add_f64 v[162:163], v[34:35], -v[28:29]
	v_add_f64 v[84:85], v[22:23], v[14:15]
	v_add_f64 v[98:99], v[24:25], -v[16:17]
	v_add_f64 v[100:101], v[0:1], -v[8:9]
	v_add_f64 v[164:165], v[18:19], v[10:11]
	v_add_f64 v[166:167], v[54:55], v[6:7]
	;; [unrolled: 1-line block ×7, first 2 shown]
	v_add_f64 v[102:103], v[20:21], -v[12:13]
	v_add_f64 v[112:113], v[62:63], -v[4:5]
	v_add_f64 v[188:189], v[110:111], v[54:55]
	v_add_f64 v[152:153], v[16:17], -v[24:25]
	v_add_f64 v[118:119], v[118:119], v[150:151]
	v_add_f64 v[150:151], v[58:59], v[52:53]
	v_add_f64 v[156:157], v[156:157], v[158:159]
	s_waitcnt lgkmcnt(1)
	v_add_f64 v[158:159], v[148:149], v[66:67]
	v_add_f64 v[154:155], v[8:9], -v[0:1]
	v_add_f64 v[80:81], v[80:81], v[82:83]
	v_add_f64 v[82:83], v[68:69], v[20:21]
	;; [unrolled: 1-line block ×3, first 2 shown]
	v_add_f64 v[90:91], v[32:33], -v[56:57]
	v_add_f64 v[86:87], v[86:87], v[92:93]
	v_add_f64 v[92:93], v[38:39], -v[30:31]
	v_add_f64 v[94:95], v[94:95], v[96:97]
	v_add_f64 v[96:97], v[40:41], v[46:47]
	v_add_f64 v[170:171], v[16:17], v[8:9]
	v_add_f64 v[172:173], v[24:25], v[0:1]
	v_add_f64 v[76:77], v[76:77], v[78:79]
	v_add_f64 v[78:79], v[108:109], v[24:25]
	v_add_f64 v[114:115], v[114:115], v[116:117]
	v_add_f64 v[116:117], v[52:53], v[42:43]
	v_add_f64 v[160:161], v[160:161], v[162:163]
	s_waitcnt lgkmcnt(0)
	v_add_f64 v[162:163], v[174:175], v[56:57]
	v_add_f64 v[98:99], v[98:99], v[100:101]
	v_add_f64 v[100:101], v[18:19], -v[10:11]
	v_fma_f64 v[84:85], v[84:85], -0.5, v[110:111]
	v_fma_f64 v[110:111], v[166:167], -0.5, v[110:111]
	v_add_f64 v[166:167], v[70:71], v[44:45]
	v_fma_f64 v[164:165], v[164:165], -0.5, v[50:51]
	v_fma_f64 v[50:51], v[168:169], -0.5, v[50:51]
	v_add_f64 v[168:169], v[48:49], v[28:29]
	;; [unrolled: 3-line block ×3, first 2 shown]
	v_add_f64 v[18:19], v[74:75], v[18:19]
	v_add_f64 v[74:75], v[40:41], -v[46:47]
	v_add_f64 v[40:41], v[150:151], v[40:41]
	v_add_f64 v[150:151], v[36:37], v[60:61]
	v_add_f64 v[180:181], v[48:49], -v[66:67]
	v_add_f64 v[102:103], v[102:103], v[112:113]
	v_add_f64 v[112:113], v[22:23], -v[14:15]
	;; [unrolled: 2-line block ×3, first 2 shown]
	v_add_f64 v[48:49], v[158:159], v[48:49]
	v_add_f64 v[158:159], v[44:45], v[64:65]
	;; [unrolled: 1-line block ×3, first 2 shown]
	v_add_f64 v[154:155], v[12:13], -v[4:5]
	v_add_f64 v[12:13], v[82:83], v[12:13]
	v_add_f64 v[66:67], v[66:67], -v[34:35]
	v_add_f64 v[26:27], v[26:27], -v[2:3]
	v_add_f64 v[90:91], v[90:91], v[92:93]
	v_fma_f64 v[92:93], v[96:97], -0.5, v[58:59]
	v_fma_f64 v[170:171], v[170:171], -0.5, v[108:109]
	;; [unrolled: 1-line block ×3, first 2 shown]
	v_add_f64 v[172:173], v[16:17], -v[8:9]
	v_add_f64 v[16:17], v[78:79], v[16:17]
	v_add_f64 v[162:163], v[162:163], v[32:33]
	v_fma_f64 v[58:59], v[116:117], -0.5, v[58:59]
	v_add_f64 v[166:167], v[166:167], v[36:37]
	v_add_f64 v[52:53], v[52:53], -v[42:43]
	v_add_f64 v[20:21], v[20:21], -v[62:63]
	v_fma_f64 v[96:97], v[168:169], -0.5, v[148:149]
	v_fma_f64 v[116:117], v[178:179], -0.5, v[148:149]
	;; [unrolled: 1-line block ×3, first 2 shown]
	v_add_f64 v[182:183], v[28:29], -v[34:35]
	v_add_f64 v[184:185], v[56:57], -v[32:33]
	v_fma_f64 v[70:71], v[158:159], -0.5, v[70:71]
	v_add_f64 v[186:187], v[30:31], -v[38:39]
	v_add_f64 v[78:79], v[32:33], v[38:39]
	v_add_f64 v[4:5], v[12:13], v[4:5]
	;; [unrolled: 1-line block ×3, first 2 shown]
	v_fma_f64 v[40:41], v[66:67], s[10:11], v[84:85]
	v_fma_f64 v[46:47], v[66:67], s[4:5], v[84:85]
	;; [unrolled: 1-line block ×3, first 2 shown]
	v_add_f64 v[32:33], v[32:33], -v[38:39]
	v_add_f64 v[10:11], v[18:19], v[10:11]
	v_fma_f64 v[92:93], v[26:27], s[10:11], v[92:93]
	v_add_f64 v[8:9], v[16:17], v[8:9]
	v_add_f64 v[16:17], v[48:49], v[28:29]
	;; [unrolled: 1-line block ×3, first 2 shown]
	v_fma_f64 v[28:29], v[188:189], s[4:5], v[110:111]
	v_fma_f64 v[38:39], v[188:189], s[10:11], v[110:111]
	;; [unrolled: 1-line block ×4, first 2 shown]
	v_add_f64 v[82:83], v[56:57], v[30:31]
	v_add_f64 v[36:37], v[36:37], -v[60:61]
	v_add_f64 v[44:45], v[44:45], -v[64:65]
	v_add_f64 v[14:15], v[22:23], v[14:15]
	v_add_f64 v[22:23], v[166:167], v[60:61]
	v_fma_f64 v[60:61], v[52:53], s[10:11], v[164:165]
	v_fma_f64 v[150:151], v[52:53], s[4:5], v[164:165]
	;; [unrolled: 1-line block ×9, first 2 shown]
	v_add_f64 v[54:55], v[54:55], -v[6:7]
	v_add_f64 v[56:57], v[56:57], -v[30:31]
	v_fma_f64 v[78:79], v[78:79], -0.5, v[174:175]
	v_add_f64 v[24:25], v[24:25], -v[0:1]
	v_add_f64 v[2:3], v[10:11], v[2:3]
	v_fma_f64 v[10:11], v[66:67], s[14:15], v[28:29]
	v_fma_f64 v[110:111], v[26:27], s[6:7], v[110:111]
	;; [unrolled: 1-line block ×4, first 2 shown]
	v_fma_f64 v[82:83], v[82:83], -0.5, v[174:175]
	v_fma_f64 v[174:175], v[44:45], s[10:11], v[176:177]
	v_add_f64 v[6:7], v[14:15], v[6:7]
	v_fma_f64 v[162:163], v[36:37], s[4:5], v[68:69]
	v_fma_f64 v[68:69], v[36:37], s[10:11], v[68:69]
	;; [unrolled: 1-line block ×12, first 2 shown]
	v_add_f64 v[0:1], v[8:9], v[0:1]
	v_fma_f64 v[8:9], v[80:81], s[16:17], v[84:85]
	v_fma_f64 v[168:169], v[56:57], s[10:11], v[170:171]
	;; [unrolled: 1-line block ×17, first 2 shown]
	v_add_f64 v[42:43], v[12:13], v[42:43]
	v_fma_f64 v[46:47], v[188:189], s[6:7], v[46:47]
	v_fma_f64 v[12:13], v[76:77], s[16:17], v[50:51]
	;; [unrolled: 1-line block ×4, first 2 shown]
	v_mul_f64 v[52:53], v[8:9], s[14:15]
	v_fma_f64 v[48:49], v[86:87], s[16:17], v[48:49]
	v_fma_f64 v[80:81], v[32:33], s[14:15], v[168:169]
	v_mul_f64 v[76:77], v[60:61], s[10:11]
	v_mul_f64 v[84:85], v[26:27], s[10:11]
	;; [unrolled: 1-line block ×3, first 2 shown]
	v_add_f64 v[4:5], v[4:5], v[62:63]
	v_fma_f64 v[66:67], v[102:103], s[16:17], v[66:67]
	v_fma_f64 v[62:63], v[56:57], s[14:15], v[158:159]
	;; [unrolled: 1-line block ×5, first 2 shown]
	v_mul_f64 v[94:95], v[14:15], s[14:15]
	v_fma_f64 v[36:37], v[102:103], s[16:17], v[36:37]
	v_mul_f64 v[100:101], v[68:69], s[10:11]
	v_mul_f64 v[102:103], v[20:21], s[10:11]
	v_fma_f64 v[32:33], v[32:33], s[6:7], v[170:171]
	v_mul_f64 v[108:109], v[70:71], s[14:15]
	v_add_f64 v[180:181], v[180:181], v[182:183]
	v_add_f64 v[182:183], v[184:185], v[186:187]
	v_fma_f64 v[178:179], v[54:55], s[4:5], v[96:97]
	v_fma_f64 v[96:97], v[54:55], s[10:11], v[96:97]
	;; [unrolled: 1-line block ×25, first 2 shown]
	v_add_f64 v[16:17], v[16:17], v[34:35]
	v_fma_f64 v[34:35], v[112:113], s[14:15], v[96:97]
	v_fma_f64 v[96:97], v[54:55], s[6:7], v[184:185]
	;; [unrolled: 1-line block ×6, first 2 shown]
	v_add_f64 v[82:83], v[6:7], v[2:3]
	v_add_f64 v[2:3], v[6:7], -v[2:3]
	v_add_f64 v[6:7], v[0:1], v[4:5]
	v_add_f64 v[0:1], v[0:1], -v[4:5]
	v_mul_f64 v[4:5], v[8:9], s[18:19]
	v_mul_f64 v[8:9], v[60:61], s[16:17]
	;; [unrolled: 1-line block ×3, first 2 shown]
	v_add_f64 v[60:61], v[40:41], v[52:53]
	v_mul_f64 v[58:59], v[58:59], s[22:23]
	v_mul_f64 v[14:15], v[14:15], s[18:19]
	;; [unrolled: 1-line block ×4, first 2 shown]
	v_add_f64 v[100:101], v[10:11], v[72:73]
	v_add_f64 v[102:103], v[28:29], v[76:77]
	;; [unrolled: 1-line block ×3, first 2 shown]
	v_add_f64 v[40:41], v[40:41], -v[52:53]
	v_add_f64 v[10:11], v[10:11], -v[72:73]
	;; [unrolled: 1-line block ×4, first 2 shown]
	v_add_f64 v[52:53], v[80:81], v[86:87]
	v_add_f64 v[72:73], v[62:63], v[88:89]
	;; [unrolled: 1-line block ×4, first 2 shown]
	v_add_f64 v[80:81], v[80:81], -v[86:87]
	v_add_f64 v[62:63], v[62:63], -v[88:89]
	v_fma_f64 v[78:79], v[172:173], s[14:15], v[78:79]
	v_add_f64 v[56:57], v[56:57], -v[94:95]
	v_add_f64 v[32:33], v[32:33], -v[98:99]
	v_mul_f64 v[70:71], v[70:71], s[22:23]
	s_barrier
	buffer_gl0_inv
	v_fma_f64 v[86:87], v[160:161], s[16:17], v[110:111]
	v_fma_f64 v[34:35], v[160:161], s[16:17], v[34:35]
	;; [unrolled: 1-line block ×7, first 2 shown]
	ds_write2_b64 v190, v[82:83], v[60:61] offset1:100
	ds_write2_b64 v191, v[100:101], v[102:103] offset0:72 offset1:172
	ds_write2_b64 v192, v[108:109], v[2:3] offset0:144 offset1:244
	;; [unrolled: 1-line block ×4, first 2 shown]
	ds_write2_b64 v106, v[6:7], v[52:53] offset1:100
	ds_write2_b64 v195, v[72:73], v[76:77] offset0:72 offset1:172
	ds_write2_b64 v196, v[84:85], v[0:1] offset0:144 offset1:244
	;; [unrolled: 1-line block ×4, first 2 shown]
	v_fma_f64 v[0:1], v[50:51], s[6:7], v[58:59]
	v_add_f64 v[2:3], v[18:19], v[30:31]
	v_fma_f64 v[6:7], v[182:183], s[16:17], v[112:113]
	v_add_f64 v[10:11], v[22:23], v[64:65]
	v_fma_f64 v[18:19], v[66:67], s[6:7], v[14:15]
	v_fma_f64 v[22:23], v[90:91], s[16:17], v[92:93]
	;; [unrolled: 1-line block ×7, first 2 shown]
	s_waitcnt lgkmcnt(0)
	s_barrier
	buffer_gl0_inv
	ds_read_b64 v[102:103], v136
	ds_read_b64 v[100:101], v146
	;; [unrolled: 1-line block ×5, first 2 shown]
	ds_read_b64 v[114:115], v136 offset:30400
	ds_read2_b64 v[12:15], v140 offset0:40 offset1:240
	v_add_f64 v[36:37], v[16:17], v[42:43]
	v_add_f64 v[38:39], v[86:87], v[4:5]
	v_add_f64 v[40:41], v[16:17], -v[42:43]
	v_add_f64 v[42:43], v[88:89], v[8:9]
	v_add_f64 v[44:45], v[86:87], -v[4:5]
	;; [unrolled: 2-line block ×4, first 2 shown]
	v_add_f64 v[34:35], v[34:35], -v[0:1]
	v_add_f64 v[54:55], v[2:3], v[10:11]
	v_add_f64 v[56:57], v[6:7], v[18:19]
	v_add_f64 v[58:59], v[2:3], -v[10:11]
	v_add_f64 v[60:61], v[22:23], v[28:29]
	v_add_f64 v[62:63], v[6:7], -v[18:19]
	;; [unrolled: 2-line block ×3, first 2 shown]
	v_add_f64 v[68:69], v[24:25], -v[20:21]
	ds_read2_b64 v[8:11], v144 offset0:8 offset1:208
	ds_read2_b64 v[16:19], v141 offset0:24 offset1:224
	;; [unrolled: 1-line block ×6, first 2 shown]
	v_add_f64 v[66:67], v[30:31], v[32:33]
	v_add_f64 v[30:31], v[30:31], -v[32:33]
	s_waitcnt lgkmcnt(0)
	s_barrier
	buffer_gl0_inv
	ds_write2_b64 v190, v[36:37], v[38:39] offset1:100
	ds_write2_b64 v191, v[42:43], v[46:47] offset0:72 offset1:172
	ds_write2_b64 v192, v[50:51], v[40:41] offset0:144 offset1:244
	;; [unrolled: 1-line block ×4, first 2 shown]
	ds_write2_b64 v106, v[54:55], v[56:57] offset1:100
	ds_write2_b64 v195, v[60:61], v[64:65] offset0:72 offset1:172
	ds_write2_b64 v196, v[66:67], v[58:59] offset0:144 offset1:244
	;; [unrolled: 1-line block ×4, first 2 shown]
	s_waitcnt lgkmcnt(0)
	s_barrier
	buffer_gl0_inv
	s_and_saveexec_b32 s0, vcc_lo
	s_cbranch_execz .LBB0_15
; %bb.14:
	v_mul_u32_u24_e32 v28, 3, v122
	v_mul_i32_i24_e32 v106, 3, v134
	v_mul_i32_i24_e32 v168, 0xffffffb8, v131
	v_mul_hi_u32 v170, 0x10624dd3, v124
	v_mad_u64_u32 v[154:155], null, s2, v128, 0
	v_lshlrev_b32_e32 v30, 4, v28
	v_lshlrev_b64 v[36:37], 4, v[106:107]
	v_mul_i32_i24_e32 v106, 3, v133
	v_mad_u64_u32 v[156:157], null, s2, v130, 0
	v_add_co_u32 v34, s0, s8, v30
	v_lshlrev_b64 v[28:29], 4, v[106:107]
	v_mul_i32_i24_e32 v106, 3, v132
	v_add_co_ci_u32_e64 v35, null, s9, 0, s0
	v_add_co_u32 v30, vcc_lo, 0x3800, v34
	v_lshlrev_b64 v[38:39], 4, v[106:107]
	v_mul_i32_i24_e32 v106, 3, v131
	v_add_co_ci_u32_e32 v31, vcc_lo, 0, v35, vcc_lo
	v_add_co_u32 v44, vcc_lo, s8, v28
	v_add_co_ci_u32_e32 v45, vcc_lo, s9, v29, vcc_lo
	v_lshlrev_b64 v[32:33], 4, v[106:107]
	v_add_co_u32 v68, vcc_lo, 0x3de0, v34
	v_add_co_ci_u32_e32 v69, vcc_lo, 0, v35, vcc_lo
	v_add_co_u32 v52, vcc_lo, 0x3de0, v44
	v_add_co_ci_u32_e32 v53, vcc_lo, 0, v45, vcc_lo
	;; [unrolled: 2-line block ×12, first 2 shown]
	s_clause 0xe
	global_load_dwordx4 v[28:31], v[30:31], off offset:1504
	global_load_dwordx4 v[40:43], v[68:69], off offset:32
	;; [unrolled: 1-line block ×15, first 2 shown]
	ds_read2_b64 v[72:75], v145 offset0:40 offset1:240
	ds_read2_b64 v[68:71], v144 offset0:8 offset1:208
	ds_read_b64 v[106:107], v147
	ds_read2_b64 v[96:99], v143 offset0:24 offset1:224
	ds_read2_b64 v[131:134], v142 offset0:8 offset1:208
	;; [unrolled: 1-line block ×5, first 2 shown]
	ds_read_b64 v[138:139], v138
	ds_read_b64 v[140:141], v137
	ds_read_b64 v[166:167], v136 offset:30400
	ds_read_b64 v[136:137], v136
	v_mad_u64_u32 v[158:159], null, s2, v123, 0
	v_mad_u64_u32 v[160:161], null, s2, v126, 0
	;; [unrolled: 1-line block ×4, first 2 shown]
	v_mul_hi_u32 v169, 0x10624dd3, v121
	v_add_co_u32 v118, vcc_lo, s12, v104
	v_mad_u64_u32 v[116:117], null, s2, v122, 0
	v_mul_hi_u32 v171, 0x10624dd3, v120
	v_add_co_ci_u32_e32 v119, vcc_lo, s13, v105, vcc_lo
	v_mad_u64_u32 v[104:105], null, s2, v129, 0
	v_lshrrev_b32_e32 v175, 6, v170
	v_add_nc_u32_e32 v168, v135, v168
	v_mov_b32_e32 v135, v155
	v_mov_b32_e32 v155, v157
	;; [unrolled: 1-line block ×6, first 2 shown]
	v_lshrrev_b32_e32 v165, 6, v169
	v_lshrrev_b32_e32 v176, 6, v171
	v_mad_u64_u32 v[170:171], null, s3, v122, v[117:118]
	v_mad_u32_u24 v186, 0xbb8, v175, v124
	s_waitcnt lgkmcnt(9)
	v_mad_u64_u32 v[171:172], null, s3, v129, v[105:106]
	s_waitcnt lgkmcnt(0)
	v_mad_u64_u32 v[128:129], null, s3, v128, v[135:136]
	v_mad_u32_u24 v135, 0xbb8, v165, v121
	v_mad_u64_u32 v[172:173], null, s3, v126, v[159:160]
	v_mad_u64_u32 v[126:127], null, s3, v127, v[161:162]
	;; [unrolled: 1-line block ×4, first 2 shown]
	v_mad_u32_u24 v187, 0xbb8, v176, v120
	v_mad_u64_u32 v[123:124], null, s2, v186, 0
	v_add_nc_u32_e32 v188, 0x3e8, v135
	v_add_nc_u32_e32 v191, 0x3e8, v186
	v_mad_u64_u32 v[173:174], null, s3, v125, v[163:164]
	v_add_nc_u32_e32 v189, 0x7d0, v135
	v_add_nc_u32_e32 v190, 0xbb8, v135
	v_mad_u64_u32 v[120:121], null, s2, v135, 0
	v_add_nc_u32_e32 v192, 0x7d0, v186
	v_mad_u64_u32 v[174:175], null, s2, v187, 0
	v_add_nc_u32_e32 v193, 0xbb8, v186
	v_mov_b32_e32 v117, v170
	v_mov_b32_e32 v105, v171
	;; [unrolled: 1-line block ×3, first 2 shown]
	v_mad_u64_u32 v[125:126], null, s2, v188, 0
	v_mad_u64_u32 v[170:171], null, s2, v191, 0
	v_add_nc_u32_e32 v194, 0x3e8, v187
	v_mov_b32_e32 v155, v128
	v_mad_u64_u32 v[127:128], null, s2, v189, 0
	v_add_nc_u32_e32 v195, 0x7d0, v187
	v_mov_b32_e32 v157, v129
	v_mov_b32_e32 v159, v122
	v_mad_u64_u32 v[129:130], null, s2, v190, 0
	v_mov_b32_e32 v122, v124
	v_add_nc_u32_e32 v196, 0xbb8, v187
	v_mov_b32_e32 v161, v172
	v_mov_b32_e32 v165, v173
	v_mad_u64_u32 v[172:173], null, s2, v192, 0
	v_mad_u64_u32 v[176:177], null, s2, v193, 0
	;; [unrolled: 1-line block ×4, first 2 shown]
	v_mov_b32_e32 v124, v175
	v_mad_u64_u32 v[184:185], null, s3, v135, v[121:122]
	v_mad_u64_u32 v[182:183], null, s2, v196, 0
	v_mov_b32_e32 v121, v126
	v_mad_u64_u32 v[185:186], null, s3, v186, v[122:123]
	v_mov_b32_e32 v122, v171
	v_mov_b32_e32 v126, v128
	;; [unrolled: 1-line block ×3, first 2 shown]
	v_mad_u64_u32 v[186:187], null, s3, v187, v[124:125]
	v_mov_b32_e32 v124, v173
	v_mov_b32_e32 v130, v177
	v_mad_u64_u32 v[187:188], null, s3, v188, v[121:122]
	v_mov_b32_e32 v135, v179
	v_mad_u64_u32 v[188:189], null, s3, v189, v[126:127]
	;; [unrolled: 2-line block ×4, first 2 shown]
	v_mad_u64_u32 v[191:192], null, s3, v192, v[124:125]
	v_mad_u64_u32 v[192:193], null, s3, v193, v[130:131]
	;; [unrolled: 1-line block ×5, first 2 shown]
	v_mov_b32_e32 v121, v184
	v_mov_b32_e32 v124, v185
	v_mov_b32_e32 v175, v186
	v_mov_b32_e32 v126, v187
	v_mov_b32_e32 v177, v192
	v_mov_b32_e32 v179, v193
	v_mov_b32_e32 v181, v194
	v_mov_b32_e32 v183, v195
	v_mov_b32_e32 v128, v188
	v_mov_b32_e32 v130, v189
	v_mov_b32_e32 v171, v190
	v_mov_b32_e32 v173, v191
	ds_read_b64 v[168:169], v168
	v_lshlrev_b64 v[116:117], 4, v[116:117]
	v_lshlrev_b64 v[104:105], 4, v[104:105]
	;; [unrolled: 1-line block ×6, first 2 shown]
	v_add_co_u32 v116, vcc_lo, v118, v116
	v_add_co_ci_u32_e32 v117, vcc_lo, v119, v117, vcc_lo
	v_add_co_u32 v104, vcc_lo, v118, v104
	v_add_co_ci_u32_e32 v105, vcc_lo, v119, v105, vcc_lo
	v_add_co_u32 v154, vcc_lo, v118, v154
	v_add_co_ci_u32_e32 v155, vcc_lo, v119, v155, vcc_lo
	v_add_co_u32 v156, vcc_lo, v118, v156
	v_add_co_ci_u32_e32 v157, vcc_lo, v119, v157, vcc_lo
	v_lshlrev_b64 v[162:163], 4, v[162:163]
	v_add_co_u32 v158, vcc_lo, v118, v158
	v_add_co_ci_u32_e32 v159, vcc_lo, v119, v159, vcc_lo
	v_lshlrev_b64 v[164:165], 4, v[164:165]
	v_add_co_u32 v160, vcc_lo, v118, v160
	v_add_co_ci_u32_e32 v161, vcc_lo, v119, v161, vcc_lo
	v_add_co_u32 v162, vcc_lo, v118, v162
	v_lshlrev_b64 v[120:121], 4, v[120:121]
	v_add_co_ci_u32_e32 v163, vcc_lo, v119, v163, vcc_lo
	v_add_co_u32 v164, vcc_lo, v118, v164
	v_lshlrev_b64 v[122:123], 4, v[123:124]
	v_add_co_ci_u32_e32 v165, vcc_lo, v119, v165, vcc_lo
	v_lshlrev_b64 v[174:175], 4, v[174:175]
	v_add_co_u32 v120, vcc_lo, v118, v120
	v_add_co_ci_u32_e32 v121, vcc_lo, v119, v121, vcc_lo
	v_lshlrev_b64 v[124:125], 4, v[125:126]
	v_add_co_u32 v122, vcc_lo, v118, v122
	;; [unrolled: 3-line block ×6, first 2 shown]
	v_add_co_ci_u32_e32 v129, vcc_lo, v119, v129, vcc_lo
	v_lshlrev_b64 v[176:177], 4, v[176:177]
	v_lshlrev_b64 v[178:179], 4, v[178:179]
	;; [unrolled: 1-line block ×4, first 2 shown]
	s_waitcnt vmcnt(14)
	v_mul_f64 v[184:185], v[12:13], v[28:29]
	v_mul_f64 v[12:13], v[12:13], v[30:31]
	s_waitcnt vmcnt(13)
	v_mul_f64 v[186:187], v[16:17], v[40:41]
	v_mul_f64 v[16:17], v[16:17], v[42:43]
	;; [unrolled: 3-line block ×3, first 2 shown]
	s_waitcnt vmcnt(11)
	v_mul_f64 v[194:195], v[26:27], v[44:45]
	s_waitcnt vmcnt(4)
	v_mul_f64 v[204:205], v[20:21], v[64:65]
	;; [unrolled: 2-line block ×3, first 2 shown]
	v_mul_f64 v[90:91], v[70:71], v[90:91]
	v_mul_f64 v[26:27], v[26:27], v[46:47]
	;; [unrolled: 1-line block ×7, first 2 shown]
	s_waitcnt vmcnt(1)
	v_mul_f64 v[210:211], v[4:5], v[82:83]
	s_waitcnt vmcnt(0)
	v_mul_f64 v[212:213], v[18:19], v[78:79]
	v_mul_f64 v[82:83], v[146:147], v[82:83]
	;; [unrolled: 1-line block ×13, first 2 shown]
	v_fma_f64 v[30:31], v[142:143], v[30:31], v[184:185]
	v_fma_f64 v[12:13], v[142:143], v[28:29], -v[12:13]
	v_fma_f64 v[28:29], v[150:151], v[42:43], v[186:187]
	v_fma_f64 v[16:17], v[150:151], v[40:41], -v[16:17]
	v_fma_f64 v[40:41], v[72:73], v[32:33], -v[192:193]
	v_fma_f64 v[0:1], v[0:1], v[32:33], v[34:35]
	v_fma_f64 v[32:33], v[98:99], v[46:47], v[194:195]
	;; [unrolled: 1-line block ×3, first 2 shown]
	v_fma_f64 v[66:67], v[70:71], v[88:89], -v[208:209]
	v_fma_f64 v[10:11], v[10:11], v[88:89], v[90:91]
	v_fma_f64 v[26:27], v[98:99], v[44:45], -v[26:27]
	v_fma_f64 v[22:23], v[133:134], v[84:85], -v[22:23]
	v_fma_f64 v[44:45], v[96:97], v[58:59], v[202:203]
	v_fma_f64 v[58:59], v[144:145], v[94:95], v[206:207]
	v_fma_f64 v[14:15], v[144:145], v[92:93], -v[14:15]
	v_fma_f64 v[70:71], v[146:147], v[80:81], -v[210:211]
	;; [unrolled: 1-line block ×3, first 2 shown]
	v_fma_f64 v[4:5], v[4:5], v[80:81], v[82:83]
	v_fma_f64 v[18:19], v[152:153], v[78:79], v[18:19]
	;; [unrolled: 1-line block ×3, first 2 shown]
	v_fma_f64 v[42:43], v[148:149], v[60:61], -v[200:201]
	v_fma_f64 v[24:25], v[96:97], v[56:57], -v[24:25]
	;; [unrolled: 1-line block ×3, first 2 shown]
	v_fma_f64 v[50:51], v[166:167], v[50:51], v[190:191]
	v_fma_f64 v[2:3], v[2:3], v[36:37], v[38:39]
	v_fma_f64 v[36:37], v[166:167], v[48:49], -v[114:115]
	v_fma_f64 v[38:39], v[68:69], v[54:55], v[198:199]
	v_fma_f64 v[8:9], v[68:69], v[52:53], -v[8:9]
	v_fma_f64 v[20:21], v[131:132], v[64:65], -v[20:21]
	v_fma_f64 v[6:7], v[6:7], v[60:61], v[62:63]
	v_add_f64 v[28:29], v[30:31], -v[28:29]
	v_add_f64 v[16:17], v[12:13], -v[16:17]
	;; [unrolled: 1-line block ×7, first 2 shown]
	s_waitcnt lgkmcnt(0)
	v_add_f64 v[52:53], v[168:169], -v[70:71]
	v_add_f64 v[22:23], v[14:15], -v[72:73]
	v_add_f64 v[62:63], v[100:101], -v[4:5]
	v_add_f64 v[18:19], v[58:59], -v[18:19]
	v_add_f64 v[34:35], v[32:33], -v[34:35]
	v_add_f64 v[60:61], v[140:141], -v[42:43]
	v_add_f64 v[42:43], v[44:45], -v[46:47]
	v_add_f64 v[72:73], v[138:139], -v[56:57]
	v_add_co_u32 v80, vcc_lo, v118, v170
	v_add_f64 v[76:77], v[108:109], -v[2:3]
	v_add_f64 v[46:47], v[38:39], -v[50:51]
	;; [unrolled: 1-line block ×5, first 2 shown]
	v_add_co_ci_u32_e32 v81, vcc_lo, v119, v171, vcc_lo
	v_fma_f64 v[4:5], v[12:13], 2.0, -v[16:17]
	v_fma_f64 v[12:13], v[30:31], 2.0, -v[28:29]
	;; [unrolled: 1-line block ×20, first 2 shown]
	v_add_f64 v[6:7], v[40:41], -v[28:29]
	v_add_f64 v[14:15], v[52:53], -v[18:19]
	;; [unrolled: 1-line block ×3, first 2 shown]
	v_add_f64 v[0:1], v[74:75], v[0:1]
	v_add_f64 v[10:11], v[50:51], -v[4:5]
	v_add_f64 v[8:9], v[54:55], -v[12:13]
	v_add_f64 v[4:5], v[48:49], v[16:17]
	v_add_f64 v[12:13], v[62:63], v[22:23]
	v_add_f64 v[18:19], v[56:57], -v[26:27]
	v_add_f64 v[20:21], v[66:67], v[20:21]
	v_add_f64 v[16:17], v[70:71], -v[58:59]
	v_add_f64 v[30:31], v[68:69], -v[30:31]
	;; [unrolled: 1-line block ×4, first 2 shown]
	v_add_f64 v[32:33], v[76:77], v[36:37]
	v_add_f64 v[22:23], v[60:61], -v[42:43]
	v_add_co_u32 v86, vcc_lo, v118, v172
	v_add_f64 v[36:37], v[90:91], -v[94:95]
	v_add_f64 v[38:39], v[88:89], -v[92:93]
	;; [unrolled: 1-line block ×4, first 2 shown]
	v_fma_f64 v[42:43], v[40:41], 2.0, -v[6:7]
	v_add_co_ci_u32_e32 v87, vcc_lo, v119, v173, vcc_lo
	v_add_co_u32 v96, vcc_lo, v118, v176
	v_fma_f64 v[46:47], v[50:51], 2.0, -v[10:11]
	v_fma_f64 v[44:45], v[54:55], 2.0, -v[8:9]
	;; [unrolled: 1-line block ×19, first 2 shown]
	v_add_co_ci_u32_e32 v97, vcc_lo, v119, v177, vcc_lo
	v_add_co_u32 v82, vcc_lo, v118, v178
	v_add_co_ci_u32_e32 v83, vcc_lo, v119, v179, vcc_lo
	global_store_dwordx4 v[116:117], v[44:47], off
	global_store_dwordx4 v[104:105], v[40:43], off
	global_store_dwordx4 v[154:155], v[8:11], off
	global_store_dwordx4 v[156:157], v[4:7], off
	global_store_dwordx4 v[158:159], v[52:55], off
	global_store_dwordx4 v[160:161], v[48:51], off
	global_store_dwordx4 v[162:163], v[16:19], off
	global_store_dwordx4 v[164:165], v[12:15], off
	global_store_dwordx4 v[120:121], v[60:63], off
	global_store_dwordx4 v[124:125], v[56:59], off
	global_store_dwordx4 v[126:127], v[24:27], off
	global_store_dwordx4 v[128:129], v[20:23], off
	global_store_dwordx4 v[122:123], v[68:71], off
	global_store_dwordx4 v[80:81], v[64:67], off
	global_store_dwordx4 v[86:87], v[28:31], off
	v_add_co_u32 v4, vcc_lo, v118, v180
	v_add_co_ci_u32_e32 v5, vcc_lo, v119, v181, vcc_lo
	v_add_co_u32 v6, vcc_lo, v118, v182
	v_add_co_ci_u32_e32 v7, vcc_lo, v119, v183, vcc_lo
	global_store_dwordx4 v[96:97], v[0:3], off
	global_store_dwordx4 v[174:175], v[76:79], off
	;; [unrolled: 1-line block ×5, first 2 shown]
.LBB0_15:
	s_endpgm
	.section	.rodata,"a",@progbits
	.p2align	6, 0x0
	.amdhsa_kernel fft_rtc_back_len4000_factors_10_10_10_4_wgs_200_tpt_200_halfLds_dp_ip_CI_sbrr_dirReg
		.amdhsa_group_segment_fixed_size 0
		.amdhsa_private_segment_fixed_size 0
		.amdhsa_kernarg_size 88
		.amdhsa_user_sgpr_count 6
		.amdhsa_user_sgpr_private_segment_buffer 1
		.amdhsa_user_sgpr_dispatch_ptr 0
		.amdhsa_user_sgpr_queue_ptr 0
		.amdhsa_user_sgpr_kernarg_segment_ptr 1
		.amdhsa_user_sgpr_dispatch_id 0
		.amdhsa_user_sgpr_flat_scratch_init 0
		.amdhsa_user_sgpr_private_segment_size 0
		.amdhsa_wavefront_size32 1
		.amdhsa_uses_dynamic_stack 0
		.amdhsa_system_sgpr_private_segment_wavefront_offset 0
		.amdhsa_system_sgpr_workgroup_id_x 1
		.amdhsa_system_sgpr_workgroup_id_y 0
		.amdhsa_system_sgpr_workgroup_id_z 0
		.amdhsa_system_sgpr_workgroup_info 0
		.amdhsa_system_vgpr_workitem_id 0
		.amdhsa_next_free_vgpr 214
		.amdhsa_next_free_sgpr 24
		.amdhsa_reserve_vcc 1
		.amdhsa_reserve_flat_scratch 0
		.amdhsa_float_round_mode_32 0
		.amdhsa_float_round_mode_16_64 0
		.amdhsa_float_denorm_mode_32 3
		.amdhsa_float_denorm_mode_16_64 3
		.amdhsa_dx10_clamp 1
		.amdhsa_ieee_mode 1
		.amdhsa_fp16_overflow 0
		.amdhsa_workgroup_processor_mode 1
		.amdhsa_memory_ordered 1
		.amdhsa_forward_progress 0
		.amdhsa_shared_vgpr_count 0
		.amdhsa_exception_fp_ieee_invalid_op 0
		.amdhsa_exception_fp_denorm_src 0
		.amdhsa_exception_fp_ieee_div_zero 0
		.amdhsa_exception_fp_ieee_overflow 0
		.amdhsa_exception_fp_ieee_underflow 0
		.amdhsa_exception_fp_ieee_inexact 0
		.amdhsa_exception_int_div_zero 0
	.end_amdhsa_kernel
	.text
.Lfunc_end0:
	.size	fft_rtc_back_len4000_factors_10_10_10_4_wgs_200_tpt_200_halfLds_dp_ip_CI_sbrr_dirReg, .Lfunc_end0-fft_rtc_back_len4000_factors_10_10_10_4_wgs_200_tpt_200_halfLds_dp_ip_CI_sbrr_dirReg
                                        ; -- End function
	.section	.AMDGPU.csdata,"",@progbits
; Kernel info:
; codeLenInByte = 15932
; NumSgprs: 26
; NumVgprs: 214
; ScratchSize: 0
; MemoryBound: 1
; FloatMode: 240
; IeeeMode: 1
; LDSByteSize: 0 bytes/workgroup (compile time only)
; SGPRBlocks: 3
; VGPRBlocks: 26
; NumSGPRsForWavesPerEU: 26
; NumVGPRsForWavesPerEU: 214
; Occupancy: 4
; WaveLimiterHint : 1
; COMPUTE_PGM_RSRC2:SCRATCH_EN: 0
; COMPUTE_PGM_RSRC2:USER_SGPR: 6
; COMPUTE_PGM_RSRC2:TRAP_HANDLER: 0
; COMPUTE_PGM_RSRC2:TGID_X_EN: 1
; COMPUTE_PGM_RSRC2:TGID_Y_EN: 0
; COMPUTE_PGM_RSRC2:TGID_Z_EN: 0
; COMPUTE_PGM_RSRC2:TIDIG_COMP_CNT: 0
	.text
	.p2alignl 6, 3214868480
	.fill 48, 4, 3214868480
	.type	__hip_cuid_a17cce3739d354e3,@object ; @__hip_cuid_a17cce3739d354e3
	.section	.bss,"aw",@nobits
	.globl	__hip_cuid_a17cce3739d354e3
__hip_cuid_a17cce3739d354e3:
	.byte	0                               ; 0x0
	.size	__hip_cuid_a17cce3739d354e3, 1

	.ident	"AMD clang version 19.0.0git (https://github.com/RadeonOpenCompute/llvm-project roc-6.4.0 25133 c7fe45cf4b819c5991fe208aaa96edf142730f1d)"
	.section	".note.GNU-stack","",@progbits
	.addrsig
	.addrsig_sym __hip_cuid_a17cce3739d354e3
	.amdgpu_metadata
---
amdhsa.kernels:
  - .args:
      - .actual_access:  read_only
        .address_space:  global
        .offset:         0
        .size:           8
        .value_kind:     global_buffer
      - .offset:         8
        .size:           8
        .value_kind:     by_value
      - .actual_access:  read_only
        .address_space:  global
        .offset:         16
        .size:           8
        .value_kind:     global_buffer
      - .actual_access:  read_only
        .address_space:  global
        .offset:         24
        .size:           8
        .value_kind:     global_buffer
      - .offset:         32
        .size:           8
        .value_kind:     by_value
      - .actual_access:  read_only
        .address_space:  global
        .offset:         40
        .size:           8
        .value_kind:     global_buffer
      - .actual_access:  read_only
        .address_space:  global
        .offset:         48
        .size:           8
        .value_kind:     global_buffer
      - .offset:         56
        .size:           4
        .value_kind:     by_value
      - .actual_access:  read_only
        .address_space:  global
        .offset:         64
        .size:           8
        .value_kind:     global_buffer
      - .actual_access:  read_only
        .address_space:  global
        .offset:         72
        .size:           8
        .value_kind:     global_buffer
      - .address_space:  global
        .offset:         80
        .size:           8
        .value_kind:     global_buffer
    .group_segment_fixed_size: 0
    .kernarg_segment_align: 8
    .kernarg_segment_size: 88
    .language:       OpenCL C
    .language_version:
      - 2
      - 0
    .max_flat_workgroup_size: 200
    .name:           fft_rtc_back_len4000_factors_10_10_10_4_wgs_200_tpt_200_halfLds_dp_ip_CI_sbrr_dirReg
    .private_segment_fixed_size: 0
    .sgpr_count:     26
    .sgpr_spill_count: 0
    .symbol:         fft_rtc_back_len4000_factors_10_10_10_4_wgs_200_tpt_200_halfLds_dp_ip_CI_sbrr_dirReg.kd
    .uniform_work_group_size: 1
    .uses_dynamic_stack: false
    .vgpr_count:     214
    .vgpr_spill_count: 0
    .wavefront_size: 32
    .workgroup_processor_mode: 1
amdhsa.target:   amdgcn-amd-amdhsa--gfx1030
amdhsa.version:
  - 1
  - 2
...

	.end_amdgpu_metadata
